;; amdgpu-corpus repo=ROCm/Tensile kind=harvested arch=n/a opt=n/a

/******************************************/
/* Function Prefix                        */
/******************************************/



/******************************************/
/* Begin Kernel                           */
/******************************************/

// Component.Signature.SignatureDefault
.amdgcn_target "amdgcn-amd-amdhsa--gfx942"
.text
.protected Cijk_Ailk_Bljk_BBS_BH_MT64x192x64_MI16x16x16x1_SN_1LDSB1_APM1_AF0EM1_AF1EM1_AMAS3_ASE_ASGT_ASLT_ASM_ASAE01_ASCE01_ASEM1_BL1_BS1_CLR0_DTVA0_DTVB0_ETSP_EPS1_ELFLR0_EMLL0_FSSC10_FL0_GLVWA8_GLVWB8_GRCGA1_GRPM1_GRVWn1_GSU1_GSUASB_GLS0_IU1_K1_LBSPPA1024_LBSPPB128_LPA32_LPB16_LRVW8_LWPMn1_MIAV1_MKFGSU256_NTA0_NTB0_NTC2_NTD2_NEPBS0_NLCA1_NLCB1_ONLL1_PGR2_PLR5_PKA0_SIA3_SLW1_SS1_SU8_SUM0_SUS256_SPO1_SRVW0_SSO0_SVW2_TSGRA0_TSGRB0_TT2_96_TLDS1_UMLDSA0_UMLDSB1_USFGROn1_VAW1_VSn1_VW2_VWB1_VFLRP0_WSGRA0_WSGRB0_WG32_8_1_WGMn32
.globl Cijk_Ailk_Bljk_BBS_BH_MT64x192x64_MI16x16x16x1_SN_1LDSB1_APM1_AF0EM1_AF1EM1_AMAS3_ASE_ASGT_ASLT_ASM_ASAE01_ASCE01_ASEM1_BL1_BS1_CLR0_DTVA0_DTVB0_ETSP_EPS1_ELFLR0_EMLL0_FSSC10_FL0_GLVWA8_GLVWB8_GRCGA1_GRPM1_GRVWn1_GSU1_GSUASB_GLS0_IU1_K1_LBSPPA1024_LBSPPB128_LPA32_LPB16_LRVW8_LWPMn1_MIAV1_MKFGSU256_NTA0_NTB0_NTC2_NTD2_NEPBS0_NLCA1_NLCB1_ONLL1_PGR2_PLR5_PKA0_SIA3_SLW1_SS1_SU8_SUM0_SUS256_SPO1_SRVW0_SSO0_SVW2_TSGRA0_TSGRB0_TT2_96_TLDS1_UMLDSA0_UMLDSB1_USFGROn1_VAW1_VSn1_VW2_VWB1_VFLRP0_WSGRA0_WSGRB0_WG32_8_1_WGMn32
.p2align 8
.type Cijk_Ailk_Bljk_BBS_BH_MT64x192x64_MI16x16x16x1_SN_1LDSB1_APM1_AF0EM1_AF1EM1_AMAS3_ASE_ASGT_ASLT_ASM_ASAE01_ASCE01_ASEM1_BL1_BS1_CLR0_DTVA0_DTVB0_ETSP_EPS1_ELFLR0_EMLL0_FSSC10_FL0_GLVWA8_GLVWB8_GRCGA1_GRPM1_GRVWn1_GSU1_GSUASB_GLS0_IU1_K1_LBSPPA1024_LBSPPB128_LPA32_LPB16_LRVW8_LWPMn1_MIAV1_MKFGSU256_NTA0_NTB0_NTC2_NTD2_NEPBS0_NLCA1_NLCB1_ONLL1_PGR2_PLR5_PKA0_SIA3_SLW1_SS1_SU8_SUM0_SUS256_SPO1_SRVW0_SSO0_SVW2_TSGRA0_TSGRB0_TT2_96_TLDS1_UMLDSA0_UMLDSB1_USFGROn1_VAW1_VSn1_VW2_VWB1_VFLRP0_WSGRA0_WSGRB0_WG32_8_1_WGMn32,@function
.section .rodata,#alloc
.p2align 6
.amdhsa_kernel Cijk_Ailk_Bljk_BBS_BH_MT64x192x64_MI16x16x16x1_SN_1LDSB1_APM1_AF0EM1_AF1EM1_AMAS3_ASE_ASGT_ASLT_ASM_ASAE01_ASCE01_ASEM1_BL1_BS1_CLR0_DTVA0_DTVB0_ETSP_EPS1_ELFLR0_EMLL0_FSSC10_FL0_GLVWA8_GLVWB8_GRCGA1_GRPM1_GRVWn1_GSU1_GSUASB_GLS0_IU1_K1_LBSPPA1024_LBSPPB128_LPA32_LPB16_LRVW8_LWPMn1_MIAV1_MKFGSU256_NTA0_NTB0_NTC2_NTD2_NEPBS0_NLCA1_NLCB1_ONLL1_PGR2_PLR5_PKA0_SIA3_SLW1_SS1_SU8_SUM0_SUS256_SPO1_SRVW0_SSO0_SVW2_TSGRA0_TSGRB0_TT2_96_TLDS1_UMLDSA0_UMLDSB1_USFGROn1_VAW1_VSn1_VW2_VWB1_VFLRP0_WSGRA0_WSGRB0_WG32_8_1_WGMn32
  .amdhsa_user_sgpr_kernarg_segment_ptr 1
  .amdhsa_user_sgpr_kernarg_preload_offset 0
  .amdhsa_user_sgpr_kernarg_preload_length 0
  .amdhsa_user_sgpr_count 2
  .amdhsa_accum_offset 256 // accvgpr offset
  .amdhsa_next_free_vgpr 256 // vgprs
  .amdhsa_next_free_sgpr 63 // sgprs
  .amdhsa_group_segment_fixed_size 39424 // lds bytes
  .amdhsa_private_segment_fixed_size 0
  .amdhsa_system_sgpr_workgroup_id_x 1
  .amdhsa_system_sgpr_workgroup_id_y 1
  .amdhsa_system_sgpr_workgroup_id_z 1
  .amdhsa_system_vgpr_workitem_id 0
  .amdhsa_float_denorm_mode_32 3
  .amdhsa_float_denorm_mode_16_64 3
.end_amdhsa_kernel
.text

/******************************************/
/* Optimizations and Config:              */
/******************************************/
/* ThreadTile= 8 x 6 */
/* SubGroup= 8 x 32 */
/* VectorWidthA=2 */
/* VectorWidthB=1 */
/* GlobalLoadVectorWidthA=8, GlobalLoadVectorWidthB=8 */
/* DirectToLdsA=False */
/* DirectToLdsB=False */
/* UseSgprForGRO=False */
.amdgpu_metadata
---
amdhsa.version:
  - 1
  - 1
amdhsa.target: amdgcn-amd-amdhsa--gfx942
amdhsa.kernels:
  - .name: Cijk_Ailk_Bljk_BBS_BH_MT64x192x64_MI16x16x16x1_SN_1LDSB1_APM1_AF0EM1_AF1EM1_AMAS3_ASE_ASGT_ASLT_ASM_ASAE01_ASCE01_ASEM1_BL1_BS1_CLR0_DTVA0_DTVB0_ETSP_EPS1_ELFLR0_EMLL0_FSSC10_FL0_GLVWA8_GLVWB8_GRCGA1_GRPM1_GRVWn1_GSU1_GSUASB_GLS0_IU1_K1_LBSPPA1024_LBSPPB128_LPA32_LPB16_LRVW8_LWPMn1_MIAV1_MKFGSU256_NTA0_NTB0_NTC2_NTD2_NEPBS0_NLCA1_NLCB1_ONLL1_PGR2_PLR5_PKA0_SIA3_SLW1_SS1_SU8_SUM0_SUS256_SPO1_SRVW0_SSO0_SVW2_TSGRA0_TSGRB0_TT2_96_TLDS1_UMLDSA0_UMLDSB1_USFGROn1_VAW1_VSn1_VW2_VWB1_VFLRP0_WSGRA0_WSGRB0_WG32_8_1_WGMn32
    .symbol: 'Cijk_Ailk_Bljk_BBS_BH_MT64x192x64_MI16x16x16x1_SN_1LDSB1_APM1_AF0EM1_AF1EM1_AMAS3_ASE_ASGT_ASLT_ASM_ASAE01_ASCE01_ASEM1_BL1_BS1_CLR0_DTVA0_DTVB0_ETSP_EPS1_ELFLR0_EMLL0_FSSC10_FL0_GLVWA8_GLVWB8_GRCGA1_GRPM1_GRVWn1_GSU1_GSUASB_GLS0_IU1_K1_LBSPPA1024_LBSPPB128_LPA32_LPB16_LRVW8_LWPMn1_MIAV1_MKFGSU256_NTA0_NTB0_NTC2_NTD2_NEPBS0_NLCA1_NLCB1_ONLL1_PGR2_PLR5_PKA0_SIA3_SLW1_SS1_SU8_SUM0_SUS256_SPO1_SRVW0_SSO0_SVW2_TSGRA0_TSGRB0_TT2_96_TLDS1_UMLDSA0_UMLDSB1_USFGROn1_VAW1_VSn1_VW2_VWB1_VFLRP0_WSGRA0_WSGRB0_WG32_8_1_WGMn32.kd'
    .language:                   OpenCL C
    .language_version:
      - 2
      - 0
    .args:
      - .name:            Tensor2dSizeA
        .size:            8
        .offset:          0
        .value_kind:      by_value
        .value_type:      u64
      - .name:            Tensor2dSizeB
        .size:            8
        .offset:          8
        .value_kind:      by_value
        .value_type:      u64
      - .name:            AddressD
        .size:            8
        .offset:          16
        .value_kind:      by_value
        .value_type:      u64
      - .name:            AddressC
        .size:            8
        .offset:          24
        .value_kind:      by_value
        .value_type:      u64
      - .name:            AddressA
        .size:            8
        .offset:          32
        .value_kind:      by_value
        .value_type:      u64
      - .name:            AddressB
        .size:            8
        .offset:          40
        .value_kind:      by_value
        .value_type:      u64
      - .name:            Alpha
        .size:            4
        .offset:          48
        .value_kind:      by_value
        .value_type:      u32
      - .name:            Beta
        .size:            4
        .offset:          52
        .value_kind:      by_value
        .value_type:      u32
      - .name:            StridesD
        .size:            8
        .offset:          56
        .value_kind:      by_value
        .value_type:      u64
      - .name:            StridesC
        .size:            8
        .offset:          64
        .value_kind:      by_value
        .value_type:      u64
      - .name:            StridesA
        .size:            8
        .offset:          72
        .value_kind:      by_value
        .value_type:      u64
      - .name:            StridesB
        .size:            8
        .offset:          80
        .value_kind:      by_value
        .value_type:      u64
      - .name:            SizesFree
        .size:            12
        .offset:          88
        .value_kind:      by_value
        .value_type:      u96
      - .name:            SizesSum
        .size:            4
        .offset:          100
        .value_kind:      by_value
        .value_type:      u32
      - .name:            OrigStaggerUIter
        .size:            4
        .offset:          104
        .value_kind:      by_value
        .value_type:      u32
      - .name:            NumWorkGroups0
        .size:            4
        .offset:          108
        .value_kind:      by_value
        .value_type:      u32
      - .name:            NumWorkGroups1
        .size:            4
        .offset:          112
        .value_kind:      by_value
        .value_type:      u32
      - .name:            NumFullBlocks
        .size:            4
        .offset:          116
        .value_kind:      by_value
        .value_type:      u32
      - .name:            WgmRemainder1
        .size:            4
        .offset:          120
        .value_kind:      by_value
        .value_type:      u32
      - .name:            MagicNumberWgmRemainder1
        .size:            4
        .offset:          124
        .value_kind:      by_value
        .value_type:      u32
    .group_segment_fixed_size:   39424
    .kernarg_segment_align:      8
    .kernarg_segment_size:       128
    .max_flat_workgroup_size:    256
    .private_segment_fixed_size: 0
    .sgpr_count:                 63
    .sgpr_spill_count:           0
    .vgpr_count:                 256
    .vgpr_spill_count:           0
    .wavefront_size:             64
...
.end_amdgpu_metadata
Cijk_Ailk_Bljk_BBS_BH_MT64x192x64_MI16x16x16x1_SN_1LDSB1_APM1_AF0EM1_AF1EM1_AMAS3_ASE_ASGT_ASLT_ASM_ASAE01_ASCE01_ASEM1_BL1_BS1_CLR0_DTVA0_DTVB0_ETSP_EPS1_ELFLR0_EMLL0_FSSC10_FL0_GLVWA8_GLVWB8_GRCGA1_GRPM1_GRVWn1_GSU1_GSUASB_GLS0_IU1_K1_LBSPPA1024_LBSPPB128_LPA32_LPB16_LRVW8_LWPMn1_MIAV1_MKFGSU256_NTA0_NTB0_NTC2_NTD2_NEPBS0_NLCA1_NLCB1_ONLL1_PGR2_PLR5_PKA0_SIA3_SLW1_SS1_SU8_SUM0_SUS256_SPO1_SRVW0_SSO0_SVW2_TSGRA0_TSGRB0_TT2_96_TLDS1_UMLDSA0_UMLDSB1_USFGROn1_VAW1_VSn1_VW2_VWB1_VFLRP0_WSGRA0_WSGRB0_WG32_8_1_WGMn32:

/******************************************/
/* Asm syntax workarounds                 */
/******************************************/
.macro _v_add_co_u32 dst:req, cc:req, src0:req, src1:req, dpp=
   v_add_co_u32 \dst, \cc, \src0, \src1 \dpp
.endm

.macro _v_add_u32 dst:req, src0:req, src1:req, dpp=
   v_add_u32 \dst, \src0, \src1 \dpp
.endm

.macro _v_add_i32 dst:req, src0:req, src1:req, dpp=
   v_add_i32 \dst, \src0, \src1 \dpp
.endm

.macro _v_addc_co_u32 dst:req, ccOut:req, src0:req, ccIn:req, src1:req, dpp=
   v_addc_co_u32 \dst, \ccOut, \src0, \ccIn, \src1 \dpp
.endm

.macro _v_sub_co_u32 dst:req, cc:req, src0:req, src1:req, dpp=
   v_sub_co_u32 \dst, \cc, \src0, \src1 \dpp
.endm

.macro _v_sub_u32 dst:req, src0:req, src1:req, dpp=
   v_sub_u32 \dst, \src0, \src1 \dpp
.endm

.macro _v_sub_i32 dst:req, src0:req, src1:req, dpp=
   v_sub_i32 \dst, \src0, \src1 \dpp
.endm

.macro _v_add_lshl_u32 dst:req, src0:req, src1:req, shiftCnt:req
    v_add_lshl_u32 \dst, \src0, \src1, \shiftCnt
.endm

.macro _v_lshl_add_u32 dst:req, src0:req, src1:req, shiftCnt:req
    v_lshl_add_u32 \dst, \src0, \src1, \shiftCnt
.endm

.macro _v_lshl_or_b32 dst:req, src0:req, shiftCnt:req, src1:req
    v_lshl_or_b32 \dst, \src0, \shiftCnt, \src1
.endm

.macro _v_dot2acc_f32_f16 dst, src0, src1
v_dot2c_f32_f16 \dst, \src0, \src1
.endm

.macro _v_cmpx_lt_i16 dst, src0, src1=
   v_cmpx_lt_i16 \dst, \src0, \src1 
.endm

.macro _v_cmpx_lt_i32 dst, src0, src1=
   v_cmpx_lt_i32 \dst, \src0, \src1 
.endm

.macro _v_cmpx_lt_i64 dst, src0, src1=
   v_cmpx_lt_i64 \dst, \src0, \src1 
.endm

.macro _v_cmpx_lt_u16 dst, src0, src1=
   v_cmpx_lt_u16 \dst, \src0, \src1 
.endm

.macro _v_cmpx_lt_u32 dst, src0, src1=
   v_cmpx_lt_u32 \dst, \src0, \src1 
.endm

.macro _v_cmpx_lt_u64 dst, src0, src1=
   v_cmpx_lt_u64 \dst, \src0, \src1 
.endm

.macro _v_cmpx_eq_i16 dst, src0, src1=
   v_cmpx_eq_i16 \dst, \src0, \src1 
.endm

.macro _v_cmpx_eq_i32 dst, src0, src1=
   v_cmpx_eq_i32 \dst, \src0, \src1 
.endm

.macro _v_cmpx_eq_i64 dst, src0, src1=
   v_cmpx_eq_i64 \dst, \src0, \src1 
.endm

.macro _v_cmpx_eq_u16 dst, src0, src1=
   v_cmpx_eq_u16 \dst, \src0, \src1 
.endm

.macro _v_cmpx_eq_u32 dst, src0, src1=
   v_cmpx_eq_u32 \dst, \src0, \src1 
.endm

.macro _v_cmpx_eq_u64 dst, src0, src1=
   v_cmpx_eq_u64 \dst, \src0, \src1 
.endm

.macro _v_cmpx_le_i16 dst, src0, src1=
   v_cmpx_le_i16 \dst, \src0, \src1 
.endm

.macro _v_cmpx_le_i32 dst, src0, src1=
   v_cmpx_le_i32 \dst, \src0, \src1 
.endm

.macro _v_cmpx_le_i64 dst, src0, src1=
   v_cmpx_le_i64 \dst, \src0, \src1 
.endm

.macro _v_cmpx_le_u16 dst, src0, src1=
   v_cmpx_le_u16 \dst, \src0, \src1 
.endm

.macro _v_cmpx_le_u32 dst, src0, src1=
   v_cmpx_le_u32 \dst, \src0, \src1 
.endm

.macro _v_cmpx_le_u64 dst, src0, src1=
   v_cmpx_le_u64 \dst, \src0, \src1 
.endm

.macro _v_cmpx_gt_i16 dst, src0, src1=
   v_cmpx_gt_i16 \dst, \src0, \src1 
.endm

.macro _v_cmpx_gt_i32 dst, src0, src1=
   v_cmpx_gt_i32 \dst, \src0, \src1 
.endm

.macro _v_cmpx_gt_i64 dst, src0, src1=
   v_cmpx_gt_i64 \dst, \src0, \src1 
.endm

.macro _v_cmpx_gt_u16 dst, src0, src1=
   v_cmpx_gt_u16 \dst, \src0, \src1 
.endm

.macro _v_cmpx_gt_u32 dst, src0, src1=
   v_cmpx_gt_u32 \dst, \src0, \src1 
.endm

.macro _v_cmpx_gt_u64 dst, src0, src1=
   v_cmpx_gt_u64 \dst, \src0, \src1 
.endm

.macro _v_cmpx_ne_i16 dst, src0, src1=
   v_cmpx_ne_i16 \dst, \src0, \src1 
.endm

.macro _v_cmpx_ne_i32 dst, src0, src1=
   v_cmpx_ne_i32 \dst, \src0, \src1 
.endm

.macro _v_cmpx_ne_i64 dst, src0, src1=
   v_cmpx_ne_i64 \dst, \src0, \src1 
.endm

.macro _v_cmpx_ne_u16 dst, src0, src1=
   v_cmpx_ne_u16 \dst, \src0, \src1 
.endm

.macro _v_cmpx_ne_u32 dst, src0, src1=
   v_cmpx_ne_u32 \dst, \src0, \src1 
.endm

.macro _v_cmpx_ne_u64 dst, src0, src1=
   v_cmpx_ne_u64 \dst, \src0, \src1 
.endm

.macro _v_cmpx_lg_i16 dst, src0, src1=
   v_cmpx_lg_i16 \dst, \src0, \src1 
.endm

.macro _v_cmpx_lg_i32 dst, src0, src1=
   v_cmpx_lg_i32 \dst, \src0, \src1 
.endm

.macro _v_cmpx_lg_i64 dst, src0, src1=
   v_cmpx_lg_i64 \dst, \src0, \src1 
.endm

.macro _v_cmpx_lg_u16 dst, src0, src1=
   v_cmpx_lg_u16 \dst, \src0, \src1 
.endm

.macro _v_cmpx_lg_u32 dst, src0, src1=
   v_cmpx_lg_u32 \dst, \src0, \src1 
.endm

.macro _v_cmpx_lg_u64 dst, src0, src1=
   v_cmpx_lg_u64 \dst, \src0, \src1 
.endm

.macro _v_cmpx_ge_i16 dst, src0, src1=
   v_cmpx_ge_i16 \dst, \src0, \src1 
.endm

.macro _v_cmpx_ge_i32 dst, src0, src1=
   v_cmpx_ge_i32 \dst, \src0, \src1 
.endm

.macro _v_cmpx_ge_i64 dst, src0, src1=
   v_cmpx_ge_i64 \dst, \src0, \src1 
.endm

.macro _v_cmpx_ge_u16 dst, src0, src1=
   v_cmpx_ge_u16 \dst, \src0, \src1 
.endm

.macro _v_cmpx_ge_u32 dst, src0, src1=
   v_cmpx_ge_u32 \dst, \src0, \src1 
.endm

.macro _v_cmpx_ge_u64 dst, src0, src1=
   v_cmpx_ge_u64 \dst, \src0, \src1 
.endm

.macro _v_cmpx_o_i16 dst, src0, src1=
   v_cmpx_o_i16 \dst, \src0, \src1 
.endm

.macro _v_cmpx_o_i32 dst, src0, src1=
   v_cmpx_o_i32 \dst, \src0, \src1 
.endm

.macro _v_cmpx_o_i64 dst, src0, src1=
   v_cmpx_o_i64 \dst, \src0, \src1 
.endm

.macro _v_cmpx_o_u16 dst, src0, src1=
   v_cmpx_o_u16 \dst, \src0, \src1 
.endm

.macro _v_cmpx_o_u32 dst, src0, src1=
   v_cmpx_o_u32 \dst, \src0, \src1 
.endm

.macro _v_cmpx_o_u64 dst, src0, src1=
   v_cmpx_o_u64 \dst, \src0, \src1 
.endm

.macro _v_cmpx_u_i16 dst, src0, src1=
   v_cmpx_u_i16 \dst, \src0, \src1 
.endm

.macro _v_cmpx_u_i32 dst, src0, src1=
   v_cmpx_u_i32 \dst, \src0, \src1 
.endm

.macro _v_cmpx_u_i64 dst, src0, src1=
   v_cmpx_u_i64 \dst, \src0, \src1 
.endm

.macro _v_cmpx_u_u16 dst, src0, src1=
   v_cmpx_u_u16 \dst, \src0, \src1 
.endm

.macro _v_cmpx_u_u32 dst, src0, src1=
   v_cmpx_u_u32 \dst, \src0, \src1 
.endm

.macro _v_cmpx_u_u64 dst, src0, src1=
   v_cmpx_u_u64 \dst, \src0, \src1 
.endm
.macro _v_mac_f32 c:req, a:req, b:req
    v_fmac_f32 \c, \a, \b
.endmacro

/* scale global load macros */
.macro _s_load_b32 dst base offset
    s_load_dword \dst \base \offset
.endm

.macro _s_load_b64 dst base offset
    s_load_dwordx2 \dst \base \offset
.endm

.macro _s_load_b128 dst base offset
    s_load_dwordx4 \dst \base \offset
.endm

.macro _s_load_b256 dst base offset
    s_load_dwordx8 \dst \base \offset
.endm

.macro _s_load_b512 dst base offset
    s_load_dwordx16 \dst \base \offset
.endm


/* ds operation macros */
.macro _ds_load_u8 dst src offset
    ds_read_u8 \dst \src \offset
.endm

.macro _ds_load_u8_d16_hi dst src offset
    ds_read_u8_d16_hi \dst \src \offset
.endm

.macro _ds_load_u16 dst src offset
    ds_read_u16 \dst \src \offset
.endm

.macro _ds_load_u16_d16_hi dst src offset
    ds_read_u16_d16_hi \dst \src \offset
.endm

.macro _ds_load_b32 dst src offset
    ds_read_b32 \dst \src \offset
.endm

.macro _ds_load_b64 dst src offset
    ds_read_b64 \dst \src \offset
.endm

.macro _ds_load_b128 dst src offset
    ds_read_b128 \dst \src \offset
.endm

.macro _ds_store_b8 dst src offset
    ds_write_b8 \dst \src \offset
.endm

.macro _ds_store_b8_d16_hi dst src offset
    ds_write_b8_d16_hi \dst \src \offset
.endm

.macro _ds_store_b16 dst src offset
    ds_write_b16 \dst \src \offset
.endm

.macro _ds_store_b16_d16_hi dst src offset
    ds_write_b16_d16_hi \dst \src \offset
.endm

.macro _ds_store_b32 dst src offset
    ds_write_b32 \dst \src \offset
.endm

.macro _ds_store_b64 dst src offset
    ds_write_b64 \dst \src \offset
.endm

.macro _ds_store_b128 dst src offset
    ds_write_b128 \dst \src \offset
.endm

.macro _ds_load2_b32 dst src offset1 offset2
    ds_read2_b32 \dst \src \offset1 \offset2
.endm

.macro _ds_load2_b64 dst src offset1 offset2
    ds_read2_b64 \dst \src \offset1 \offset2
.endm

.macro _ds_store2_b32 dst src offset1 offset2
    ds_write2_b32 \dst \src \offset1 \offset2
.endm

.macro _ds_store2_b64 dst src offset1 offset2
    ds_write2_b64 \dst \src \offset1 \offset2
.endm


/* buffer memory operation macros */
.macro _buffer_load_b32 dst voffset base soffset offen ioffset md0 md1 md2
    buffer_load_dword \dst \voffset \base \soffset \offen \ioffset \md0 \md1 \md2
.endm

.macro _buffer_load_b64 dst voffset base soffset offen ioffset md0 md1 md2
    buffer_load_dwordx2 \dst \voffset \base \soffset \offen \ioffset \md0 \md1 \md2
.endm

.macro _buffer_load_b96 dst voffset base soffset offen ioffset md0 md1 md2
    buffer_load_dwordx3 \dst \voffset \base \soffset \offen \ioffset \md0 \md1 \md2
.endm

.macro _buffer_load_b128 dst voffset base soffset offen ioffset md0 md1 md2
    buffer_load_dwordx4 \dst \voffset \base \soffset \offen \ioffset \md0 \md1 \md2
.endm

.macro _buffer_load_d16_b16 dst voffset base soffset offen ioffset md0 md1 md2
    buffer_load_short_d16 \dst \voffset \base \soffset \offen \ioffset \md0 \md1 \md2
.endm

.macro _buffer_load_d16_hi_b16 dst voffset base soffset offen ioffset md0 md1 md2
    buffer_load_short_d16_hi \dst \voffset \base \soffset \offen \ioffset \md0 \md1 \md2
.endm

.macro _buffer_load_d16_u8 dst voffset base soffset offen ioffset md0 md1 md2
    buffer_load_ubyte_d16 \dst \voffset \base \soffset \offen \ioffset \md0 \md1 \md2
.endm

.macro _buffer_load_d16_hi_u8 dst voffset base soffset offen ioffset md0 md1 md2
    buffer_load_ubyte_d16_hi \dst \voffset \base \soffset \offen \ioffset \md0 \md1 \md2
.endm

.macro _buffer_load_u16 dst voffset base soffset offen ioffset md0 md1 md2
    buffer_load_ushort \dst \voffset \base \soffset \offen \ioffset \md0 \md1 \md2
.endm

.macro _buffer_load_b32_dtl voffset base soffset offen ioffset md0 md1 md2
    buffer_load_dword \voffset \base \soffset \offen \ioffset \md0 \md1 \md2
.endm

.macro _buffer_load_b64_dtl voffset base soffset offen ioffset md0 md1 md2
    buffer_load_dwordx2 \voffset \base \soffset \offen \ioffset \md0 \md1 \md2
.endm

.macro _buffer_load_b128_dtl voffset base soffset offen ioffset md0 md1 md2
    buffer_load_dwordx4 \voffset \base \soffset \offen \ioffset \md0 \md1 \md2
.endm

.macro _buffer_load_u16_dtl voffset base soffset offen ioffset md0 md1 md2
    buffer_load_ushort \voffset \base \soffset \offen \ioffset \md0 \md1 \md2
.endm

.macro _buffer_store_b32 src voffset base soffset offen ioffset md0 md1 md2
    buffer_store_dword \src \voffset \base \soffset \offen \ioffset \md0 \md1 \md2
.endm

.macro _buffer_store_b64 src voffset base soffset offen ioffset md0 md1 md2
    buffer_store_dwordx2 \src \voffset \base \soffset \offen \ioffset \md0 \md1 \md2
.endm

.macro _buffer_store_b96 src voffset base soffset offen ioffset md0 md1 md2
    buffer_store_dwordx3 \src \voffset \base \soffset \offen \ioffset \md0 \md1 \md2
.endm

.macro _buffer_store_b128 src voffset base soffset offen ioffset md0 md1 md2
    buffer_store_dwordx4 \src \voffset \base \soffset \offen \ioffset \md0 \md1 \md2
.endm

.macro _buffer_store_b16 src voffset base soffset offen ioffset md0 md1 md2
    buffer_store_short \src \voffset \base \soffset \offen \ioffset \md0 \md1 \md2
.endm

.macro _buffer_store_d16_hi_b16 src voffset base soffset offen ioffset md0 md1 md2
    buffer_store_short_d16_hi \src \voffset \base \soffset \offen \ioffset \md0 \md1 \md2
.endm

.macro _buffer_store_b8 src voffset base soffset offen ioffset md0 md1 md2
    buffer_store_byte \src \voffset \base \soffset \offen \ioffset \md0 \md1 \md2
.endm

.macro _buffer_store_d16_hi_b8 src voffset base soffset offen ioffset md0 md1 md2
    buffer_store_byte_d16_hi \src \voffset \base \soffset \offen \ioffset \md0 \md1 \md2
.endm

.macro _buffer_atomic_cmpswap_b32 dst voffset base soffset offen ioffset md0 md1 md2
    buffer_atomic_cmpswap \dst \voffset \base \soffset \offen \ioffset \md0 \md1 \md2
.endm

.macro _buffer_atomic_cmpswap_b64 dst voffset base soffset offen ioffset md0 md1 md2
    buffer_atomic_cmpswap_x2 \dst \voffset \base \soffset \offen \ioffset \md0 \md1 \md2
.endm


/* buffer memory operation macros */
.macro _global_load_b32 dst base src ioffset md0 md1 md2
    global_load_dword \dst \base \src \ioffset \md0 \md1 \md2
.endm

.macro _global_load_b64 dst base src ioffset md0 md1 md2
    global_load_dwordx2 \dst \base \src \ioffset \md0 \md1 \md2
.endm

.macro _global_load_b96 dst base src ioffset md0 md1 md2
    global_load_dwordx3 \dst \base \src \ioffset \md0 \md1 \md2
.endm

.macro _global_load_b128 dst base src ioffset md0 md1 md2
    global_load_dwordx4 \dst \base \src \ioffset \md0 \md1 \md2
.endm

.macro _global_load_d16_b16 dst base src ioffset md0 md1 md2
    global_load_short_d16 \dst \base \src \ioffset \md0 \md1 \md2
.endm

.macro _global_load_d16_hi_b16 dst base src ioffset md0 md1 md2
    global_load_short_d16_hi \dst \base \src \ioffset \md0 \md1 \md2
.endm

.macro _global_load_d16_u8 dst base src ioffset md0 md1 md2
    global_load_ubyte_d16 \dst \base \src \ioffset \md0 \md1 \md2
.endm

.macro _global_load_d16_hi_u8 dst base src ioffset md0 md1 md2
    global_load_ubyte_d16_hi \dst \base \src \ioffset \md0 \md1 \md2
.endm

.macro _global_load_u16 dst base src ioffset md0 md1 md2
    global_load_ushort \dst \base \src \ioffset \md0 \md1 \md2
.endm

.macro _global_store_b32 base src src2 md0 md1 md2
    global_store_dword \base \src \src2 \md0 \md1 \md2
.endm

.macro _global_store_b64 base src src2 md0 md1 md2
    global_store_dwordx2 \base \src \src2 \md0 \md1 \md2
.endm

.macro _global_store_b96 base src src2 md0 md1 md2
    global_store_dwordx3 \base \src \src2 \md0 \md1 \md2
.endm

.macro _global_store_b128 base src src2 md0 md1 md2
    global_store_dwordx4 \base \src \src2 \md0 \md1 \md2
.endm

.macro _global_store_d16_b16 base src src2 md0 md1 md2
    global_store_short \base \src \src2 \md0 \md1 \md2
.endm

.macro _global_store_d16_hi_b16 base src src2 md0 md1 md2
    global_store_short_d16_hi \base \src \src2 \md0 \md1 \md2
.endm

.macro _global_store_d16_u8 base src src2 md0 md1 md2
    global_store_ubyte_d16 \base \src \src2 \md0 \md1 \md2
.endm

.macro _global_store_d16_hi_u8 base src src2 md0 md1 md2
    global_store_ubyte_d16_hi \base \src \src2 \md0 \md1 \md2
.endm

.macro _global_store_u16 base src src2 md0 md1 md2
    global_store_ushort \base \src \src2 \md0 \md1 \md2
.endm

.macro _global_atomic_cmpswap_b32 tmp base data src ioffset md
    global_atomic_cmpswap \tmp \base \data \src \ioffset \md
.endm

.macro _global_atomic_cmpswap_b64 tmp base data src ioffset md
    global_atomic_cmpswap_x2 \tmp \base \data \src \ioffset \md
.endm


/******************************************/
/* Magic div and mod functions            */
/******************************************/
.macro V_MAGIC_DIV dstIdx:req, dividend:req, magicNumber:req, magicShift:req, magicA:req
    v_mul_hi_u32 v[\dstIdx+1], \dividend, \magicNumber
    v_mul_lo_u32 v[\dstIdx+0], \dividend, \magicA
    _v_add_u32 v[\dstIdx+0], v[\dstIdx+0], v[\dstIdx+1]
    v_lshrrev_b32 v[\dstIdx+0], \magicShift, v[\dstIdx+0]
.endm

/******************************************/
/* VGPR Assignments                       */
/******************************************/
/* ValuC range: [0-48), serializedStore enabled */
.set vgprValuC, 0
/* ValuA/B   Xn=PLR buffer idx,  In=InnerUnroll idx */
.set vgprValuA_X0_I0, 48
.set vgprValuA_X1_I0, 52
.set vgprValuA_X2_I0, 56
.set vgprValuA_X3_I0, 60
.set vgprG2LA, 122
.set vgprValuB_X0_I0, 64
.set vgprValuB_X1_I0, 76
.set vgprValuB_X2_I0, 88
.set vgprValuB_X3_I0, 100
.set vgprG2LB, 130
.set vgprLocalWriteAddrA, 112
.set vgprLocalWriteAddrB, 113
.set vgprGlobalReadOffsetA, 114
.set vgprGlobalReadOffsetB, 116
.set vgprLocalReadAddrA, 154
.set vgprLocalReadAddrB, 155
.set vgprSerial, 156
/* Num VGPR=256 */
/* Num AccVGPR=0 */

/******************************************/
/* SGPR Assignments                       */
/******************************************/
.set sgprKernArgAddress, 0 // (2)
.set sgprWorkGroup0, 2 // (1)
.set sgprWorkGroup1, 3 // (1)
.set sgprWorkGroup2, 4 // (1)
.set sgprLoopCounterL, 5 // (1)
.set sgprOrigLoopCounter, 6 // (1)
.set sgprSrdA, 8 // (4)
.set sgprSrdB, 12 // (4)
.set sgprSrdD, 16 // (4)
.set sgprSrdC, 20 // (4)
.set sgprTensor2dSizeA, 24 // (2)
.set sgprTensor2dSizeB, 26 // (2)
.set sgprAddressD, 28 // (2)
.set sgprAddressC, 30 // (2)
.set sgprAddressA, 32 // (2)
.set sgprAddressB, 34 // (2)
.set sgprAlpha, 36 // (1)
.set sgprBeta, 37 // (1)
.set sgprStridesD, 38 // (2)
.set sgprStridesC, 40 // (2)
.set sgprStridesA, 42 // (2)
.set sgprStridesB, 44 // (2)
.set sgprSizesFree, 46 // (3)
.set sgprSizesSum, 49 // (1)
.set sgprOrigStaggerUIter, 50 // (1)
.set sgprNumWorkGroups0, 51 // (1)
.set sgprNumWorkGroups1, 52 // (1)
.set sgprNumFullBlocks, 53 // (1)
.set sgprWgmRemainder1, 54 // (1)
.set sgprMagicNumberWgmRemainder1, 55 // (1)
.set sgprShadowLimitA, 0 // (2)
.set sgprShadowLimitB, 28 // (2)
.set sgprStaggerUIter, 7 // (1)
.set sgprWrapUA, 30 // (2)
.set sgprWrapUB, 32 // (2)
.set sgprGlobalReadIncsA, 34 // (1)
.set sgprGlobalReadIncsB, 35 // (1)
/* max SGPR=63 */

/* Size Assignments */
.set sgprSizeI, sgprSizesFree+0
.set sgprSizeJ, sgprSizesFree+1
.set sgprSizeK, sgprSizesFree+2
.set sgprSizeL, sgprSizesSum+0

/* Stride Assignments */
.set constStrideD0I, 1
.set sgprStrideD1J, sgprStridesD+0
.set sgprStrideDK, sgprStridesD+1
.set constStrideC0I, 1
.set sgprStrideC1J, sgprStridesC+0
.set sgprStrideCK, sgprStridesC+1
.set constStrideA0I, 1
.set sgprStrideAL, sgprStridesA+0
.set sgprStrideAK, sgprStridesA+1
.set constStrideBL, 1
.set sgprStrideB1J, sgprStridesB+0
.set sgprStrideBK, sgprStridesB+1

.set MT0, 64
.set MT1, 192
.set DepthU, 64
.set GSU, 1
.set BpeA, 2
.set BpeALog2, 1
.set BpeB, 2
.set BpeBLog2, 1
/* Number of elements to shift-left SRD */
.set SrdShiftLeftA, 8
.set SrdShiftLeftB, 8
/* 2GB limit - set offsets to -1 to exceed this and clamp */
.set BufferLimitA, 0xffffffff
.set BufferLimitB, 0xffffffff
.set BufferOOB, 0xfffff000

/******************************************/
/* Bits 127:96 of SRD.                    */
/* hex: 0x00020000                        */
/* dst_sel_x (3b): 0                      */
/* dst_sel_y (3b): 0                      */
/* dst_sel_z (3b): 0                      */
/* dst_sel_w (3b): 0                      */
/* num_format (3b): 0                     */
/* data_format (4b): 4                    */
/* user_vm_enable (1b): 0                 */
/* user_vm_mode (1b): 0                   */
/* index_stride (2b): 0                   */
/* add_tid_enable (1b): 0                 */
/* _unusedA (3b): 0                       */
/* nv (1b): 0                             */
/* _unusedB (2b): 0                       */
/* type (2b): 0                           */
/******************************************/
.set Srd127_96, 0x00020000

/* Global Offset A */
.macro GLOBAL_OFFSET_A vgprAddr:req vgprOffset0I:req vgprOffsetL:req vgprTmp:req
v_mul_lo_u32 v[\vgprTmp+0], s[sgprStrideAL], v[\vgprOffsetL] // mul d1 lower
_v_add_co_u32 v[\vgprAddr+0], vcc, v[\vgprOffset0I], v[\vgprTmp+0] // accumulate K lower
_v_add_u32 v[\vgprAddr+0], 0x8, v[\vgprAddr+0]     // add prepad for pointer shift
v_lshlrev_b32 v[\vgprAddr+0], 0x1, v[\vgprAddr+0]  // offset *= bytes/element
.endm

/* Global Offset B */
.macro GLOBAL_OFFSET_B vgprAddr:req vgprOffsetL:req vgprOffset1J:req vgprTmp:req
v_mul_lo_u32 v[\vgprTmp+0], s[sgprStrideB1J], v[\vgprOffset1J] // mul d1 lower
_v_add_co_u32 v[\vgprAddr+0], vcc, v[\vgprOffsetL], v[\vgprTmp+0] // accumulate K lower
_v_add_u32 v[\vgprAddr+0], 0x8, v[\vgprAddr+0]     // add prepad for pointer shift
v_lshlrev_b32 v[\vgprAddr+0], 0x1, v[\vgprAddr+0]  // offset *= bytes/element
.endm

/******************************************/
/* Dynamic Scalar Divide: vQuotient=vDividend/vDivisor; vRemainder=vDividend%vDivisor; */
/******************************************/
.macro DYNAMIC_VECTOR_DIVIDE vQuotient vRemainder vDividend vDivisor vTmp0 vTmp1 sTmp
v_cvt_f32_u32 v[\vQuotient], v[\vDivisor]          // 
v_rcp_f32 v[\vQuotient], v[\vQuotient]             // 
v_mul_f32 v[\vQuotient], 0x4f800000, v[\vQuotient] // 
v_cvt_u32_f32 v[\vQuotient], v[\vQuotient]         // 
v_mul_lo_u32 v[\vRemainder], v[\vDivisor], v[\vQuotient] // 
v_mul_hi_u32 v[\vTmp0], v[\vDivisor], v[\vQuotient] // 
_v_sub_co_u32 v[\vTmp1], vcc, 0x0, v[\vRemainder]  // 
v_cmp_ne_i32 s[\sTmp:\sTmp+1], 0x0, v[\vTmp0]      // 
v_cndmask_b32 v[\vRemainder], v[\vTmp1], v[\vRemainder], s[\sTmp:\sTmp+1] // 
v_mul_hi_u32 v[\vRemainder], v[\vRemainder], v[\vQuotient] // 
_v_sub_co_u32 v[\vTmp0], vcc, v[\vQuotient], v[\vRemainder] // 
_v_add_co_u32 v[\vQuotient], vcc, v[\vQuotient], v[\vRemainder] // 
v_cndmask_b32 v[\vQuotient], v[\vQuotient], v[\vTmp0], s[\sTmp:\sTmp+1] // 
v_mul_hi_u32 v[\vQuotient], v[\vQuotient], v[\vDividend] // 
v_mul_lo_u32 v[\vRemainder], v[\vQuotient], v[\vDivisor] // 
_v_sub_co_u32 v[\vTmp0], vcc, v[\vDividend], v[\vRemainder] // 
v_cmp_ge_u32 s[\sTmp:\sTmp+1], v[\vDividend], v[\vRemainder] // 
_v_add_co_u32 v[\vRemainder], vcc, 0x1, v[\vQuotient] // 
_v_add_co_u32 v[\vTmp1], vcc, -1, v[\vQuotient]    // 
v_cmp_le_u32 vcc, v[\vDivisor], v[\vTmp0]          // 
s_and_b64 vcc, s[\sTmp:\sTmp+1], vcc               // 
v_cndmask_b32 v[\vQuotient], v[\vQuotient], v[\vRemainder], vcc // 
v_cndmask_b32 v[\vQuotient], v[\vTmp1], v[\vQuotient], s[\sTmp:\sTmp+1] // 
v_cmp_ne_i32 vcc, 0x0, v[\vDivisor]                // 
v_cndmask_b32 v[\vQuotient], -1, v[\vQuotient], vcc // final result
v_mul_lo_u32 v[\vRemainder], v[\vQuotient], v[\vDivisor] // 
_v_sub_co_u32 v[\vRemainder], vcc, v[\vDividend], v[\vRemainder] // final result
.endm


	;; [unrolled: 1-line block ×3, first 2 shown]
/******************************************/
/* Allocate Resources                     */
/******************************************/

Cijk_Ailk_Bljk_BBS_BH_MT64x192x64_MI16x16x16x1_SN_1LDSB1_APM1_AF0EM1_AF1EM1_AMAS3_ASE_ASGT_ASLT_ASM_ASAE01_ASCE01_ASEM1_BL1_BS1_CLR0_DTVA0_DTVB0_ETSP_EPS1_ELFLR0_EMLL0_FSSC10_FL0_GLVWA8_GLVWB8_GRCGA1_GRPM1_GRVWn1_GSU1_GSUASB_GLS0_IU1_K1_LBSPPA1024_LBSPPB128_LPA32_LPB16_LRVW8_LWPMn1_MIAV1_MKFGSU256_NTA0_NTB0_NTC2_NTD2_NEPBS0_NLCA1_NLCB1_ONLL1_PGR2_PLR5_PKA0_SIA3_SLW1_SS1_SU8_SUM0_SUS256_SPO1_SRVW0_SSO0_SVW2_TSGRA0_TSGRB0_TT2_96_TLDS1_UMLDSA0_UMLDSB1_USFGROn1_VAW1_VSn1_VW2_VWB1_VFLRP0_WSGRA0_WSGRB0_WG32_8_1_WGMn32_preloaded: // Kernel start when preloading
s_setprio 3                                        // optimization store

/* Load Kernel Args */
_s_load_b512 s[24:39], s[sgprKernArgAddress:sgprKernArgAddress+1], 0x0 // 
_s_load_b512 s[40:55], s[sgprKernArgAddress:sgprKernArgAddress+1], 0x40 // 
s_mov_b32 m0, 0x9a00                               // LDS clamp at 39424 bytes
v_mov_b32 v[vgprSerial], v0                        // thread serial id

/******************************************/
/* Local Read Addresses                   */
/******************************************/


/* local read addresses: tile assignments a/b */

/*lr0I*/
v_and_b32 v1, 63, v[vgprSerial]                    // 0. thread id in wave: wtid = tid % wavelength(64)
v_and_b32 v0, 15, v1                               // 1. N offset: nIdx = wtid % MI_N(16)
                                                   // 1. N offset: nOffset = nIdx * nStride(1) (multiplier is 1, do nothing)
                                                   // 2. block offset: bnIdx = bnIdx % num1DBlocks(1) is 0. do nothing
v_lshlrev_b32 v0, 0x1, v0                          // 4. apply VectorWidth: bnOffset = bnOffset * vw(2)
v_lshrrev_b32 v1, 4, v1                            // 5. K offset: kIdx = wtid / (MIN(16) * MIBB(1))
v_lshlrev_b32 v1, 0x9, v1                          // 5. K offset: lrKOffset = kIdx * mStride(512)
_v_add_u32 v0, v1, v0                              // 6. offset in wave: lrOffset = bnOffset + lrKOffset
v_lshrrev_b32 v2, 6, v[vgprSerial]                 // 7. wave offset in N dimen: wtid = tid / dividedForWaveId(64)
v_and_b32 v1, 1, v2                                // 7. wave offset in M dimen: wtid0 = wtid / num1DWaves(2)
v_lshlrev_b32 v1, 0x5, v1                          // 7. wave offset in M dimen: wOffset = wtid0 * W0Stride(32)
_v_add_u32 v0, v1, v0                              // 8. final local read offset: flrOffset = lrOffset + WOffset
/*lr1J*/
v_and_b32 v2, 63, v[vgprSerial]                    // 0. thread id in wave: wtid = tid % wavelength(64)
v_and_b32 v1, 15, v2                               // 1. N offset: nIdx = wtid % MI_N(16)
v_lshlrev_b32 v1, 0x6, v1                          // 1. N offset: nOffset = nIdx * nStride(64)
                                                   // 2. block offset: bnIdx = bnIdx % num1DBlocks(1) is 0. do nothing
                                                   // 4. apply VectorWidth: bnOffset = bnOffset * vw(1) (multiplier is 1, do nothing)
v_lshrrev_b32 v2, 4, v2                            // 5. K offset: kIdx = wtid / (MIN(16) * MIBB(1))
v_lshlrev_b32 v2, 0x3, v2                          // 5. K offset: lrKOffset = kIdx * mStride(8)
_v_add_u32 v1, v2, v1                              // 6. offset in wave: lrOffset = bnOffset + lrKOffset
v_lshrrev_b32 v3, 7, v[vgprSerial]                 // 7. wave offset in N dimen: wtid = tid / dividedForWaveId(128)
v_and_b32 v2, 1, v3                                // 7. wave offset in M dimen: wtid0 = wtid / num1DWaves(2)
v_lshlrev_b32 v2, 0xa, v2                          // 7. wave offset in M dimen: wOffset = wtid0 * W0Stride(1024)
_v_add_u32 v1, v2, v1                              // 8. final local read offset: flrOffset = lrOffset + WOffset


/* local read addresses: final offsets a */

v_lshlrev_b32 v[vgprLocalReadAddrA], 0x1, v0       // Final Offset: offset = (lro0)*bpe
v_lshrrev_b32 v0, 10, v[vgprLocalReadAddrA]        // Final Offset: padding 32 per block 1024
v_lshlrev_b32 v0, 0x6, v0                          // Final Offset: padding 32 per block 1024
_v_add_u32 v[vgprLocalReadAddrA], v0, v[vgprLocalReadAddrA] // Final Offset: add padding 32 per block 1024


/* local read addresses: final offsets b */

v_lshlrev_b32 v[vgprLocalReadAddrB], 0x1, v1       // Final Offset: offset = (lro1)*bpe
v_lshrrev_b32 v0, 7, v[vgprLocalReadAddrB]         // Final Offset: padding 16 per block 128
v_lshlrev_b32 v0, 0x5, v0                          // Final Offset: padding 16 per block 128
_v_add_u32 v[vgprLocalReadAddrB], v0, v[vgprLocalReadAddrB] // Final Offset: add padding 16 per block 128


/* local read addresses: declare addresses a */

/* N/A */


/* local read addresses: declare addresses b */

_v_add_co_u32 v[vgprLocalReadAddrB+0], vcc, 0x2200, v[vgprLocalReadAddrB+0] //  += LdsOffsetB (lower)


/* global read addresses: tile offset assignment a */

/* LVCA = 8 */
/* v0 = (local)groA-tile = serial%LVCA (note (wgA*MTA) will be added to SRD) */
/* v1 = groA-unroll = serial/LVCA */
v_lshrrev_b32 v1, 3, v[vgprSerial]                 // v1 = v[vgprSerial] / 8
v_and_b32 v0, 7, v[vgprSerial]                     // v0 = v[vgprSerial] % 8
/* gro-tile *= glvw */
v_lshlrev_b32 v0, 0x3, v0                          // v0 = v0 * 8


/* global read addresses: tile offset assignment b */

/* LVCB = 8 */
/* v2 = (local)groB-tile = serial/LVCB (note (wgB*MTB) will be added to SRD) */
/* v3 = groB-unroll = serial%LVCB */
v_lshrrev_b32 v2, 3, v[vgprSerial]                 // v2 = v[vgprSerial] / 8
v_and_b32 v3, 7, v[vgprSerial]                     // v3 = v[vgprSerial] % 8
/* gro-unroll *= glvw */
v_lshlrev_b32 v3, 0x3, v3                          // v3 = v3 * 8


/******************************************/
/* Local Write Addresses                  */
/******************************************/

/* lwaTileAssignmentA = v0 */

/* lwaTileAssignmentB = v2 */

/* lwaUnrollAssignmentA = v1 */

/* lwaUnrollAssignmentB = v3 */


/* local write addresses: first offset a */

v_mul_u32_u24 v[vgprLocalWriteAddrA], 0x40, v1     // lwAL**(MTA + PAD)
_v_add_lshl_u32 v[vgprLocalWriteAddrA], v0, v[vgprLocalWriteAddrA], 0x1 // lwFOA = (lwAA + lwAL*(MT0I+PAD))*bpe
v_lshrrev_b32 v4, 10, v[vgprLocalWriteAddrA]       // padding 32 per block 1024
v_lshlrev_b32 v4, 0x6, v4                          // padding 32 per block 1024
_v_add_u32 v[vgprLocalWriteAddrA], v4, v[vgprLocalWriteAddrA] // add padding 32 per block 1024


/* local write addresses: first offset b */

v_mul_u32_u24 v[vgprLocalWriteAddrB], 0x40, v2     // lwBL**(DepthU_Compute + PAD)
_v_add_lshl_u32 v[vgprLocalWriteAddrB], v3, v[vgprLocalWriteAddrB], 0x1 // lwFOB = (lwBB + lwBL*(DepthU+PAD))*bpe
v_lshrrev_b32 v4, 7, v[vgprLocalWriteAddrB]        // padding 16 per block 128
v_lshlrev_b32 v4, 0x5, v4                          // padding 16 per block 128
_v_add_u32 v[vgprLocalWriteAddrB], v4, v[vgprLocalWriteAddrB] // add padding 16 per block 128
_v_add_co_u32 v[vgprLocalWriteAddrB], vcc, 0x2200, v[vgprLocalWriteAddrB] // lwFOB = lwB1J + lwBL*MT1J + LDS_OFFSET_B=4352*2


	;; [unrolled: 1-line block ×7, first 2 shown]
s_waitcnt lgkmcnt(0)                               // wait for 128 bytes of kern args
s_mov_b64 s[sgprSrdC+0:sgprSrdC+0+1], s[sgprAddressC+0:sgprAddressC+0+1] // copy addressC
s_mov_b64 s[sgprSrdD+0:sgprSrdD+0+1], s[sgprAddressD+0:sgprAddressD+0+1] // copy addressD
s_sub_u32 s[sgprSrdA+0], s[sgprAddressA+0], 16     // pre-pad to make room for possible pointer shift
s_subb_u32 s[sgprSrdA+1], s[sgprAddressA+1], 0     // pre-pad to make room for possible pointer shift
s_sub_u32 s[sgprSrdB+0], s[sgprAddressB+0], 16     // pre-pad to make room for possible pointer shift
s_subb_u32 s[sgprSrdB+1], s[sgprAddressB+1], 0     // pre-pad to make room for possible pointer shift

.set AddressD, UNDEF
.set AddressC, UNDEF
.set AddressA, UNDEF
.set AddressB, UNDEF

/* Short circuit condition if Alpha == 0, then sumDims=0 */
v_cmp_eq_f32 vcc, s[sgprAlpha], 0.0                // Alpha == 0.0f ?
s_cbranch_vccz label_AlphaNonZero                  // branch if alpha != 0
s_mov_b32 s[sgprSizesSum+0], 0x0                   // Set summation dim=0 if Alpha == 0
label_AlphaNonZero:


	;; [unrolled: 1-line block ×3, first 2 shown]
/******************************************/
/* Begin setupNewTile, isPap=False           */
/******************************************/


/* global read addresses: work-group */

/* graWorkGroup mapping */


/* global read addresses: unroll assignment a */

/* v1 */


/* global read addresses: unroll assignment b */

/* v3 */


/* global read addresses: other free assignments */

/* s[sgprWorkGroup2] */


/* global read addresses: tile offsets a */

v_mov_b32 v4, v0                                   // groA0I_0


/* global read addresses: tile offsets b */

v_mov_b32 v5, v2                                   // groB1J_0
_v_add_co_u32 v6, vcc, 32, v5                      // groB1J_1 += LSPB
_v_add_co_u32 v7, vcc, 32, v6                      // groB1J_2 += LSPB
_v_add_co_u32 v8, vcc, 32, v7                      // groB1J_3 += LSPB
_v_add_co_u32 v9, vcc, 32, v8                      // groB1J_4 += LSPB
_v_add_co_u32 v10, vcc, 32, v9                     // groB1J_5 += LSPB


/* global read addresses: unroll offsets a */

v_mov_b32 v11, v1                                  // groAL_0
_v_add_co_u32 v12, vcc, 32, v11                    // groAL_1 + LSPA


/* global read addresses: unroll offsets b */

v_mov_b32 v13, v3                                  // groBL_0


/* global read addresses: shift a */

s_mul_i32 s58, s[sgprWorkGroup0], 64               // WorkGroup[01] * MT
s_sub_u32 s58, s[sgprSizeI], s58                   // edge = Size0I - WG*MT
s_sub_u32 s58, s58, 8                              // edge -= margin(8)
v_mov_b32 v14, s58                                 // edge vgpr = Size0I- WG*MT - margin(8)
v_min_i32 v4, v14, v4                              // offset = (offset < edge) ? offset(v4) : edge(v14)


/* global read addresses: final offsets a */

GLOBAL_OFFSET_A vgprGlobalReadOffsetA+0,  4, 11, 14 // gROA_0_0_0_0
GLOBAL_OFFSET_A vgprGlobalReadOffsetA+1,  4, 12, 14 // gROA_0_0_1_0


/* global read addresses: final offsets b */

GLOBAL_OFFSET_B vgprGlobalReadOffsetB+0, 13,  5, 14 // gROB_0_0_0_0
GLOBAL_OFFSET_B vgprGlobalReadOffsetB+1, 13,  6, 14 // gROB_0_0_1_0
GLOBAL_OFFSET_B vgprGlobalReadOffsetB+2, 13,  7, 14 // gROB_0_0_2_0
GLOBAL_OFFSET_B vgprGlobalReadOffsetB+3, 13,  8, 14 // gROB_0_0_3_0
GLOBAL_OFFSET_B vgprGlobalReadOffsetB+4, 13,  9, 14 // gROB_0_0_4_0
GLOBAL_OFFSET_B vgprGlobalReadOffsetB+5, 13, 10, 14 // gROB_0_0_5_0


/* global read addresses: addresses a */

/* max read offset = size[n] * stride[n-1] */
s_mul_hi_u32 s61, s[sgprWorkGroup0], 64            // WorkGroup[01] * MT
s_mul_i32 s60, s[sgprWorkGroup0], 64               // WorkGroup[01] * MT
s_sub_u32 s[sgprShadowLimitA+0], s[sgprTensor2dSizeA], s60 // sub tileStart
s_subb_u32 s[sgprShadowLimitA+1], s[sgprTensor2dSizeA+1], s61 // sub tileStart
s_lshl_b64 s[sgprShadowLimitA:sgprShadowLimitA+1], s[sgprShadowLimitA:sgprShadowLimitA+1], 0x1 // Set limit to use bytes
s_add_u32 s[sgprShadowLimitA+0], s[sgprShadowLimitA+0], 16 // extend limit for pre-pad
s_addc_u32 s[sgprShadowLimitA+1], s[sgprShadowLimitA+1], 0 // extend limit for pre-pad
s_cmp_eq_u32 s[sgprShadowLimitA+1], 0              // are we within 2^32?
s_cselect_b32 s[sgprSrdA+2], s[sgprShadowLimitA+0], BufferLimitA // Move shadow to real if we are within 2^32
s_mul_hi_u32 s59, s[sgprStrideAK], s[sgprWorkGroup2] // Stride*WG
s_mul_i32 s58, s[sgprStrideAK], s[sgprWorkGroup2]  // Stride*WG
s_add_u32 s60, s60, s58                            // accum wg term to tilestart
s_addc_u32 s61, s61, s59                           // accum wg term to tilestart
s_lshl_b64 s[60:61], s[60:61], 0x1                 // tileStart *= BPE
s_add_u32 s[sgprSrdA+0], s[sgprSrdA+0], s60        // SRD base = Address+ tileStart0
s_addc_u32 s[sgprSrdA+1], s[sgprSrdA+1], s61       // SRD base = Address+ tileStart1
s_mov_b32 s[sgprSrdA+3], Srd127_96                 // Set bits 127_96 in SRD


/* global read addresses: addresses b */

/* max read offset = size[n] * stride[n-1] */
s_mul_hi_u32 s61, s[sgprWorkGroup1], 192           // WorkGroup[01] * MT
s_mul_i32 s60, s[sgprWorkGroup1], 192              // WorkGroup[01] * MT
s_mul_hi_u32 s61, s60, s[sgprStrideB1J]            // tlu=0, scaled tile-offset by stride
s_mul_i32 s60, s60, s[sgprStrideB1J]               // tlu=0, scaled tile-offset by stride
s_sub_u32 s[sgprShadowLimitB+0], s[sgprTensor2dSizeB], s60 // sub tileStart
s_subb_u32 s[sgprShadowLimitB+1], s[sgprTensor2dSizeB+1], s61 // sub tileStart
s_lshl_b64 s[sgprShadowLimitB:sgprShadowLimitB+1], s[sgprShadowLimitB:sgprShadowLimitB+1], 0x1 // Set limit to use bytes
s_add_u32 s[sgprShadowLimitB+0], s[sgprShadowLimitB+0], 16 // extend limit for pre-pad
s_addc_u32 s[sgprShadowLimitB+1], s[sgprShadowLimitB+1], 0 // extend limit for pre-pad
s_cmp_eq_u32 s[sgprShadowLimitB+1], 0              // are we within 2^32?
s_cselect_b32 s[sgprSrdB+2], s[sgprShadowLimitB+0], BufferLimitB // Move shadow to real if we are within 2^32
s_mul_hi_u32 s59, s[sgprStrideBK], s[sgprWorkGroup2] // Stride*WG
s_mul_i32 s58, s[sgprStrideBK], s[sgprWorkGroup2]  // Stride*WG
s_add_u32 s60, s60, s58                            // accum wg term to tilestart
s_addc_u32 s61, s61, s59                           // accum wg term to tilestart
s_lshl_b64 s[60:61], s[60:61], 0x1                 // tileStart *= BPE
s_add_u32 s[sgprSrdB+0], s[sgprSrdB+0], s60        // SRD base = Address+ tileStart0
s_addc_u32 s[sgprSrdB+1], s[sgprSrdB+1], s61       // SRD base = Address+ tileStart1
s_mov_b32 s[sgprSrdB+3], Srd127_96                 // Set bits 127_96 in SRD


/* global read addresses: increments a */

s_mul_i32 s[sgprGlobalReadIncsA+0], DepthU*BpeA, s[sgprStrideAL] // incrA unrollIdx)


/* global read addresses: increments b */

s_mov_b32 s[sgprGlobalReadIncsB+0], DepthU*BpeB    // incrB (unrollIdx)

/* declare loop num iterations */


s_lshr_b32 s[sgprLoopCounterL], s[sgprSizesSum+0], 6 // s[sgprLoopCounterL] = s[sgprSizesSum+0] / 64
s_mov_b32 s[sgprOrigLoopCounter], s[sgprLoopCounterL] // copy loop counter

s_and_b32 s[sgprStaggerUIter], s[sgprOrigStaggerUIter], s[sgprWorkGroup0] // Compute actual stagger start for this tile
s_lshl_b32 s[sgprStaggerUIter], s[sgprStaggerUIter], 1 // shift by StaggerUStride


/* SRDs += (StaggerUIter) * GlobalReadIncsA+0 */
s_mul_hi_u32 s59, s[sgprStaggerUIter], s[sgprGlobalReadIncsA+0] //  stagger byte offset
s_mul_i32 s58, s[sgprStaggerUIter], s[sgprGlobalReadIncsA+0] //  stagger byte offset
s_mul_hi_u32 s[sgprWrapUA+1], s[sgprLoopCounterL], s[sgprGlobalReadIncsA+0] // Number of bytes accessed by the unroll loop
s_mul_i32 s[sgprWrapUA+0], s[sgprLoopCounterL], s[sgprGlobalReadIncsA+0] // Number of bytes accessed by the unroll loop
s_sub_u32 s[sgprWrapUA+0], s[sgprGlobalReadIncsA+0], s[sgprWrapUA+0] // remove one iteration
s_subb_u32 s[sgprWrapUA+1], 0, s[sgprWrapUA+1]     // remove one iteration
s_add_u32 s[sgprSrdA+0], s[sgprSrdA+0], s58        // gra SRD += inc(lower)
s_addc_u32  s[sgprSrdA+1], s[sgprSrdA+1], s59      // gra SRD += inc(upper)
s_sub_u32 s[sgprShadowLimitA+0], s[sgprShadowLimitA+0], s58 // limit -= inc)
s_subb_u32 s[sgprShadowLimitA+1], s[sgprShadowLimitA+1], s59 // limit -= inc)
s_cmp_eq_u32 s[sgprShadowLimitA+1], 0              // are we within 2^32?
s_cselect_b32 s[sgprSrdA+2], s[sgprShadowLimitA+0], BufferLimitA // Move shadow to real if we are within 2^32


/* SRDs += (StaggerUIter) * GlobalReadIncsB+0 */
s_mul_hi_u32 s59, s[sgprStaggerUIter], s[sgprGlobalReadIncsB+0] //  stagger byte offset
s_mul_i32 s58, s[sgprStaggerUIter], s[sgprGlobalReadIncsB+0] //  stagger byte offset
s_mul_hi_u32 s[sgprWrapUB+1], s[sgprLoopCounterL], s[sgprGlobalReadIncsB+0] // Number of bytes accessed by the unroll loop
s_mul_i32 s[sgprWrapUB+0], s[sgprLoopCounterL], s[sgprGlobalReadIncsB+0] // Number of bytes accessed by the unroll loop
s_sub_u32 s[sgprWrapUB+0], s[sgprGlobalReadIncsB+0], s[sgprWrapUB+0] // remove one iteration
s_subb_u32 s[sgprWrapUB+1], 0, s[sgprWrapUB+1]     // remove one iteration
s_add_u32 s[sgprSrdB+0], s[sgprSrdB+0], s58        // gra SRD += inc(lower)
s_addc_u32  s[sgprSrdB+1], s[sgprSrdB+1], s59      // gra SRD += inc(upper)
s_sub_u32 s[sgprShadowLimitB+0], s[sgprShadowLimitB+0], s58 // limit -= inc)
s_subb_u32 s[sgprShadowLimitB+1], s[sgprShadowLimitB+1], s59 // limit -= inc)
s_cmp_eq_u32 s[sgprShadowLimitB+1], 0              // are we within 2^32?
s_cselect_b32 s[sgprSrdB+2], s[sgprShadowLimitB+0], BufferLimitB // Move shadow to real if we are within 2^32
s_add_u32 s[sgprStaggerUIter], s[sgprStaggerUIter], 2 // Subtract (PGR-1); StaggerUIter now contains target iteration to wrap

/* local read addresses: init pointers a */


/* localReadInitPointers */

/* local read addresses: init pointers b */


/* localReadInitPointers */


/* prefetch: global -> local */

s_cmp_eq_u32 s[sgprLoopCounterL], 0                // at last iteration?
s_setprio 0                                        // optimization store
s_cbranch_scc1 ShadowInitStart_10                  // skip to ShadowInitStart iter b/c numIter==0


_buffer_load_b128 v[vgprG2LA+0:vgprG2LA+0+3], v[vgprGlobalReadOffsetA+0], s[sgprSrdA:sgprSrdA+3], 0, offen offset:0 // G -> Reg 0_0_0_0
_buffer_load_b128 v[vgprG2LA+4:vgprG2LA+4+3], v[vgprGlobalReadOffsetA+1], s[sgprSrdA:sgprSrdA+3], 0, offen offset:0 // G -> Reg 0_0_1_0


_buffer_load_b128 v[vgprG2LB+0:vgprG2LB+0+3], v[vgprGlobalReadOffsetB+0], s[sgprSrdB:sgprSrdB+3], 0, offen offset:0 // G -> Reg 0_0_0_0
_buffer_load_b128 v[vgprG2LB+4:vgprG2LB+4+3], v[vgprGlobalReadOffsetB+1], s[sgprSrdB:sgprSrdB+3], 0, offen offset:0 // G -> Reg 0_0_1_0
_buffer_load_b128 v[vgprG2LB+8:vgprG2LB+8+3], v[vgprGlobalReadOffsetB+2], s[sgprSrdB:sgprSrdB+3], 0, offen offset:0 // G -> Reg 0_0_2_0
_buffer_load_b128 v[vgprG2LB+12:vgprG2LB+12+3], v[vgprGlobalReadOffsetB+3], s[sgprSrdB:sgprSrdB+3], 0, offen offset:0 // G -> Reg 0_0_3_0
_buffer_load_b128 v[vgprG2LB+16:vgprG2LB+16+3], v[vgprGlobalReadOffsetB+4], s[sgprSrdB:sgprSrdB+3], 0, offen offset:0 // G -> Reg 0_0_4_0
_buffer_load_b128 v[vgprG2LB+20:vgprG2LB+20+3], v[vgprGlobalReadOffsetB+5], s[sgprSrdB:sgprSrdB+3], 0, offen offset:0 // G -> Reg 0_0_5_0


/* global read inc A loopL */
s_add_u32 s60, s[sgprLoopCounterL], 1              // remove pf(1)
s_cmp_eq_u32 s[sgprStaggerUIter], s60              // Is this wrapIter? (pf)
s_cselect_b32 s58, s[sgprWrapUA+0], s[sgprGlobalReadIncsA+0] // incLower <- ?
s_cselect_b32 s59, s[sgprWrapUA+1], 0              // incUpper <- ?
s_add_u32 s[sgprSrdA+0], s[sgprSrdA+0], s58        // gra SRD += inc(lower)
s_addc_u32  s[sgprSrdA+1], s[sgprSrdA+1], s59      // gra SRD += inc(upper)
s_sub_u32 s[sgprShadowLimitA+0], s[sgprShadowLimitA+0], s58 // limit -= inc)
s_subb_u32 s[sgprShadowLimitA+1], s[sgprShadowLimitA+1], s59 // limit -= inc)
s_cmp_eq_u32 s[sgprShadowLimitA+1], 0              // are we within 2^32?
s_cselect_b32 s[sgprSrdA+2], s[sgprShadowLimitA+0], BufferLimitA // Move shadow to real if we are within 2^32

/* global read inc B loopL */
s_add_u32 s60, s[sgprLoopCounterL], 1              // remove pf(1)
s_cmp_eq_u32 s[sgprStaggerUIter], s60              // Is this wrapIter? (pf)
s_cselect_b32 s58, s[sgprWrapUB+0], s[sgprGlobalReadIncsB+0] // incLower <- ?
s_cselect_b32 s59, s[sgprWrapUB+1], 0              // incUpper <- ?
s_add_u32 s[sgprSrdB+0], s[sgprSrdB+0], s58        // gra SRD += inc(lower)
s_addc_u32  s[sgprSrdB+1], s[sgprSrdB+1], s59      // gra SRD += inc(upper)
s_sub_u32 s[sgprShadowLimitB+0], s[sgprShadowLimitB+0], s58 // limit -= inc)
s_subb_u32 s[sgprShadowLimitB+1], s[sgprShadowLimitB+1], s59 // limit -= inc)
s_cmp_eq_u32 s[sgprShadowLimitB+1], 0              // are we within 2^32?
s_cselect_b32 s[sgprSrdB+2], s[sgprShadowLimitB+0], BufferLimitB // Move shadow to real if we are within 2^32


/******************************************/
/* End setupNewTile, isPap=False             */
/******************************************/

ShadowInitStart_10: // 

s_mov_b32 s[sgprSrdD+2], BufferOOB                 // 
s_mov_b32 s[sgprSrdD+3], Srd127_96                 // Set bits 127_96 in post-loop SRD

s_mov_b32 s[sgprSrdC+2], BufferOOB                 // 
s_mov_b32 s[sgprSrdC+3], Srd127_96                 // Set bits 127_96 in post-loop SRD


s_mul_i32 s58, MT1, s[sgprWorkGroup1]              // <- wg1*MT1
s_mul_hi_u32 s57, s58, s[sgprStrideC1J]            // CScale s58 by Stride
s_mul_i32 s56, s58, s[sgprStrideC1J]               // CScale s58 by Stride
s_lshl_b64 s[56:57], s[56:57], 1                   // scale by bpe
s_add_u32 s[sgprSrdC+0], s[sgprSrdC+0], s56        // add lo to SRD
s_addc_u32 s[sgprSrdC+1], s[sgprSrdC+1], s57       // add hi to SRD
s_mul_hi_u32 s57, s58, s[sgprStrideD1J]            // Scale s58 by Stride
s_mul_i32 s56, s58, s[sgprStrideD1J]               // Scale s58 by Stride
s_lshl_b64 s[56:57], s[56:57], 1                   // scale by bpe
s_add_u32 s[sgprSrdD+0], s[sgprSrdD+0], s56        // add lo to SRD
s_addc_u32 s[sgprSrdD+1], s[sgprSrdD+1], s57       // add hi to SRD

s_mul_hi_u32 s57, s[sgprWorkGroup2], s[sgprStrideCK] // CScale s[sgprWorkGroup2] by Stride
s_mul_i32 s56, s[sgprWorkGroup2], s[sgprStrideCK]  // CScale s[sgprWorkGroup2] by Stride
s_lshl_b64 s[56:57], s[56:57], 1                   // scale by bpe
s_add_u32 s[sgprSrdC+0], s[sgprSrdC+0], s56        // add lo to SRD
s_addc_u32 s[sgprSrdC+1], s[sgprSrdC+1], s57       // add hi to SRD
s_mul_hi_u32 s57, s[sgprWorkGroup2], s[sgprStrideDK] // Scale s[sgprWorkGroup2] by Stride
s_mul_i32 s56, s[sgprWorkGroup2], s[sgprStrideDK]  // Scale s[sgprWorkGroup2] by Stride
s_lshl_b64 s[56:57], s[56:57], 1                   // scale by bpe
s_add_u32 s[sgprSrdD+0], s[sgprSrdD+0], s56        // add lo to SRD
s_addc_u32 s[sgprSrdD+1], s[sgprSrdD+1], s57       // add hi to SRD


	;; [unrolled: 1-line block ×3, first 2 shown]
/* initC: remove C-tile 0-48 from pool */

/* initC: remove AB-tile 48-112 from pool */
v_mov_b64 v[vgprValuC+0:vgprValuC+0+1], 0x0        // initC
v_mov_b64 v[vgprValuC+2:vgprValuC+2+1], 0x0        // initC
	;; [unrolled: 1-line block ×5, first 2 shown]
v_mov_b64 v[vgprValuC+10:vgprValuC+10+1], 0x0      // initC
v_mov_b64 v[vgprValuC+12:vgprValuC+12+1], 0x0      // initC
	;; [unrolled: 1-line block ×19, first 2 shown]

s_cmp_eq_u32 s[sgprLoopCounterL], 0                // at last iteration?

/* after InitC, skip to end of prefetch last iter if numIter==0 */
s_cbranch_scc0 label_NoBranch_11                   // Only branch on scc1
s_getpc_B64 s[56:57]                               // addr of next instr
s_add_i32 s58, PrefetchGlobalLastIterEnd_5, 0x4    // target branch offset
s_add_u32 s56, s56, s58                            // add target branch offset
s_addc_u32 s57, s57, 0                             // add high and carry
s_setpc_b64 s[56:57]                               // branch to PrefetchGlobalLastIterEnd_5
label_NoBranch_11:

s_waitcnt vmcnt(0)                                 // lgkmcnt=-1 vmcnt=0 8wait for global read


/* local write a */
_ds_store_b128 v[vgprLocalWriteAddrA], v[vgprG2LA+0:vgprG2LA+0+3] offset:0 // lwoA_0_0_0_0 = (0*LSCA) + (0*LSPA)(*MT0I+PAD) = 0
_ds_store_b128 v[vgprLocalWriteAddrA], v[vgprG2LA+4:vgprG2LA+4+3] offset:4352 // lwoA_0_0_1_0 = (0*LSCA) + (1*LSPA)(*MT0I+PAD) = 4352

/* local write b */
_ds_store_b128 v[vgprLocalWriteAddrB], v[vgprG2LB+0:vgprG2LB+0+3] offset:0 // lwoB_0_0_0_0 = (0*LSCB)*(MT1J+PAD) + (0*LSPB) = 0
_ds_store_b128 v[vgprLocalWriteAddrB], v[vgprG2LB+4:vgprG2LB+4+3] offset:5120 // lwoB_0_0_1_0 = (0*LSCB)*(MT1J+PAD) + (1*LSPB) = 5120
_ds_store_b128 v[vgprLocalWriteAddrB], v[vgprG2LB+8:vgprG2LB+8+3] offset:10240 // lwoB_0_0_2_0 = (0*LSCB)*(MT1J+PAD) + (2*LSPB) = 10240
_ds_store_b128 v[vgprLocalWriteAddrB], v[vgprG2LB+12:vgprG2LB+12+3] offset:15360 // lwoB_0_0_3_0 = (0*LSCB)*(MT1J+PAD) + (3*LSPB) = 15360
_ds_store_b128 v[vgprLocalWriteAddrB], v[vgprG2LB+16:vgprG2LB+16+3] offset:20480 // lwoB_0_0_4_0 = (0*LSCB)*(MT1J+PAD) + (4*LSPB) = 20480
_ds_store_b128 v[vgprLocalWriteAddrB], v[vgprG2LB+20:vgprG2LB+20+3] offset:25600 // lwoB_0_0_5_0 = (0*LSCB)*(MT1J+PAD) + (5*LSPB) = 25600


/* local write swap a */


	;; [unrolled: 1-line block ×3, first 2 shown]
/* local write swap b */




s_cmp_eq_u32 s[sgprLoopCounterL] 0x1               // PGR=2 but only 1 loop
s_cbranch_scc1 label_0012                          // PGR=2 but only 1 loop


_buffer_load_b128 v[vgprG2LA+0:vgprG2LA+0+3], v[vgprGlobalReadOffsetA+0], s[sgprSrdA:sgprSrdA+3], 0, offen offset:0 // G -> Reg 0_0_0_0
_buffer_load_b128 v[vgprG2LA+4:vgprG2LA+4+3], v[vgprGlobalReadOffsetA+1], s[sgprSrdA:sgprSrdA+3], 0, offen offset:0 // G -> Reg 0_0_1_0


_buffer_load_b128 v[vgprG2LB+0:vgprG2LB+0+3], v[vgprGlobalReadOffsetB+0], s[sgprSrdB:sgprSrdB+3], 0, offen offset:0 // G -> Reg 0_0_0_0
_buffer_load_b128 v[vgprG2LB+4:vgprG2LB+4+3], v[vgprGlobalReadOffsetB+1], s[sgprSrdB:sgprSrdB+3], 0, offen offset:0 // G -> Reg 0_0_1_0
_buffer_load_b128 v[vgprG2LB+8:vgprG2LB+8+3], v[vgprGlobalReadOffsetB+2], s[sgprSrdB:sgprSrdB+3], 0, offen offset:0 // G -> Reg 0_0_2_0
_buffer_load_b128 v[vgprG2LB+12:vgprG2LB+12+3], v[vgprGlobalReadOffsetB+3], s[sgprSrdB:sgprSrdB+3], 0, offen offset:0 // G -> Reg 0_0_3_0
_buffer_load_b128 v[vgprG2LB+16:vgprG2LB+16+3], v[vgprGlobalReadOffsetB+4], s[sgprSrdB:sgprSrdB+3], 0, offen offset:0 // G -> Reg 0_0_4_0
_buffer_load_b128 v[vgprG2LB+20:vgprG2LB+20+3], v[vgprGlobalReadOffsetB+5], s[sgprSrdB:sgprSrdB+3], 0, offen offset:0 // G -> Reg 0_0_5_0

label_0012:                                        // 

s_waitcnt lgkmcnt(0)                               // lgkmcnt=0 vmcnt=-10prefetch wait for local write

// Skip force waitcnt0
s_barrier //


/* local read prefetch a */

_ds_load_u16 v[vgprValuA_X0_I0+0], v[vgprLocalReadAddrA] offset:0 // L -> Reg lro=0 swapByteOffset=0 ti=64 vIdx=0 rIdx=0 oIdx=0 buffer=0 iui=0
_ds_load_u16_d16_hi v157, v[vgprLocalReadAddrA] offset:128 // L -> Reg lro=0 swapByteOffset=0 ti=64 vIdx=0 rIdx=1 oIdx=0 buffer=0 iui=0
_ds_load_u16 v[vgprValuA_X0_I0+1], v[vgprLocalReadAddrA] offset:256 // L -> Reg lro=0 swapByteOffset=0 ti=64 vIdx=0 rIdx=2 oIdx=0 buffer=0 iui=0
_ds_load_u16_d16_hi v158, v[vgprLocalReadAddrA] offset:384 // L -> Reg lro=0 swapByteOffset=0 ti=64 vIdx=0 rIdx=3 oIdx=0 buffer=0 iui=0
_ds_load_u16 v[vgprValuA_X0_I0+2], v[vgprLocalReadAddrA] offset:2 // L -> Reg lro=0 swapByteOffset=0 ti=64 vIdx=0 rIdx=0 oIdx=0 buffer=0 iui=0
_ds_load_u16_d16_hi v159, v[vgprLocalReadAddrA] offset:130 // L -> Reg lro=0 swapByteOffset=0 ti=64 vIdx=0 rIdx=1 oIdx=0 buffer=0 iui=0
_ds_load_u16 v[vgprValuA_X0_I0+3], v[vgprLocalReadAddrA] offset:258 // L -> Reg lro=0 swapByteOffset=0 ti=64 vIdx=0 rIdx=2 oIdx=0 buffer=0 iui=0
_ds_load_u16_d16_hi v160, v[vgprLocalReadAddrA] offset:386 // L -> Reg lro=0 swapByteOffset=0 ti=64 vIdx=0 rIdx=3 oIdx=0 buffer=0 iui=0


/* local read prefetch b */

_ds_load_b128 v[vgprValuB_X0_I0+0:vgprValuB_X0_I0+0+3], v[vgprLocalReadAddrB] offset:0 // L -> Reg lro=0 swapByteOffset=0 ti=32 vIdx=0 rIdx=0 oIdx=0 buffer=0 iui=0
_ds_load_b128 v[vgprValuB_X0_I0+4:vgprValuB_X0_I0+4+3], v[vgprLocalReadAddrB] offset:5120 // L -> Reg lro=0 swapByteOffset=0 ti=32 vIdx=1 rIdx=0 oIdx=0 buffer=0 iui=0
	;; [unrolled: 1-line block ×6, first 2 shown]


/* local read inc a */

/* N/A, lro->256 */
/* self.localReadDoCntA 1 self.localReadDoCntB 1 */


/* local read inc b */

/* N/A, lro->32 */
/* self.localReadDoCntA 1 self.localReadDoCntB 1 */


	;; [unrolled: 1-line block ×3, first 2 shown]
/******************************************/
/* Unrolled Loop(s) - Begin               */
/******************************************/

openLoopL_13:
s_cmp_eq_u32 s[sgprLoopCounterL], 0x1              // LoopCounterL < EndCounter
s_cbranch_scc1 label_0014                          // PGR=2 but only 1 loop, toPGR1
s_cmp_le_u32 s[sgprLoopCounterL], 0x2              // LoopCounterL < EndCounter
s_cbranch_scc1 LoopEndL_evenexit_4                 // do not enter LoopL
LoopBeginL_1:


/******************************************/
/* Unrolled Loop 1/2 - Begin              */
/******************************************/

label_0015: // LoopCopy1 


/* Begin Each Unroll: Check VGPR.checkin for INT8 LW */


	;; [unrolled: 1-line block ×3, first 2 shown]
/* iter 0 */

/*  grEndMfmaIndex:18, lwStartMfmaIndex:31, lwEndMfmaIndex:33  */
/*  numMfmaForLR:11, barrierMfmaIndex:36, LocalWritePerMfma:3.120 */
/*  mfmaIndex:0  */
s_waitcnt lgkmcnt(0)                               // lgkmcnt=0 vmcnt=-1wait for prior local read local write old=0, new=0 newLW=0 newLR=0
/* pack scheduling: packAIdx:2, packBIdx:0 */
v_or_b32 v[vgprValuA_X0_I0+0], v[vgprValuA_X0_I0+0], v157 // pack two half Vgpr to one Vgpr
v_or_b32 v[vgprValuA_X0_I0+1], v[vgprValuA_X0_I0+1], v158 // pack two half Vgpr to one Vgpr
	;; [unrolled: 1-line block ×4, first 2 shown]
v_mfma_f32_16x16x16_bf16 v[0+0:3+0], v[vgprValuB_X0_I0+0+0+0:vgprValuB_X0_I0+0+0+0+1], v[vgprValuA_X0_I0+0+0+0:vgprValuA_X0_I0+0+0+0+1], v[0:3]
/*  mfmaIndex:1  */
_ds_load_u16 v[vgprValuA_X1_I0+0], v[vgprLocalReadAddrA] offset:512 // L -> Reg lro=256 swapByteOffset=0 ti=64 vIdx=0 rIdx=0 oIdx=0 buffer=1 iui=0
_ds_load_u16_d16_hi v161, v[vgprLocalReadAddrA] offset:640 // L -> Reg lro=256 swapByteOffset=0 ti=64 vIdx=0 rIdx=1 oIdx=0 buffer=1 iui=0

/* global read inc A loopL */
s_cmp_eq_u32 s[sgprLoopCounterL], s[sgprStaggerUIter] // Is this the wrapIter?
v_mfma_f32_16x16x16_bf16 v[4+0:7+0], v[vgprValuB_X0_I0+0+0+0:vgprValuB_X0_I0+0+0+0+1], v[vgprValuA_X0_I0+2+0+0:vgprValuA_X0_I0+2+0+0+1], v[4:7]
/*  mfmaIndex:2  */
_ds_load_u16 v[vgprValuA_X1_I0+1], v[vgprLocalReadAddrA] offset:768 // L -> Reg lro=256 swapByteOffset=0 ti=64 vIdx=0 rIdx=2 oIdx=0 buffer=1 iui=0
_ds_load_u16_d16_hi v162, v[vgprLocalReadAddrA] offset:896 // L -> Reg lro=256 swapByteOffset=0 ti=64 vIdx=0 rIdx=3 oIdx=0 buffer=1 iui=0
s_cselect_b32 s56, s[sgprWrapUA+0], s[sgprGlobalReadIncsA+0] // incLower <- ?
v_mfma_f32_16x16x16_bf16 v[12+0:15+0], v[vgprValuB_X0_I0+4+0+0:vgprValuB_X0_I0+4+0+0+1], v[vgprValuA_X0_I0+2+0+0:vgprValuA_X0_I0+2+0+0+1], v[12:15]
/*  mfmaIndex:3  */
_ds_load_b128 v[vgprValuB_X2_I0+0:vgprValuB_X2_I0+0+3], v[vgprLocalReadAddrB] offset:64 // L -> Reg lro=32 swapByteOffset=0 ti=32 vIdx=0 rIdx=0 oIdx=0 buffer=2 iui=0
_ds_load_u16 v[vgprValuA_X1_I0+2], v[vgprLocalReadAddrA] offset:514 // L -> Reg lro=256 swapByteOffset=0 ti=64 vIdx=0 rIdx=0 oIdx=0 buffer=1 iui=0
s_cselect_b32 s57, s[sgprWrapUA+1], 0              // incUpper <- ?
v_mfma_f32_16x16x16_bf16 v[8+0:11+0], v[vgprValuB_X0_I0+4+0+0:vgprValuB_X0_I0+4+0+0+1], v[vgprValuA_X0_I0+0+0+0:vgprValuA_X0_I0+0+0+0+1], v[8:11]
/*  mfmaIndex:4  */
_ds_load_u16_d16_hi v163, v[vgprLocalReadAddrA] offset:642 // L -> Reg lro=256 swapByteOffset=0 ti=64 vIdx=0 rIdx=1 oIdx=0 buffer=1 iui=0
s_add_u32 s[sgprSrdA+0], s[sgprSrdA+0], s56        // gra SRD += inc(lower)
v_mfma_f32_16x16x16_bf16 v[16+0:19+0], v[vgprValuB_X0_I0+8+0+0:vgprValuB_X0_I0+8+0+0+1], v[vgprValuA_X0_I0+0+0+0:vgprValuA_X0_I0+0+0+0+1], v[16:19]
/*  mfmaIndex:5  */
_ds_load_u16 v[vgprValuA_X1_I0+3], v[vgprLocalReadAddrA] offset:770 // L -> Reg lro=256 swapByteOffset=0 ti=64 vIdx=0 rIdx=2 oIdx=0 buffer=1 iui=0
s_addc_u32  s[sgprSrdA+1], s[sgprSrdA+1], s57      // gra SRD += inc(upper)
v_mfma_f32_16x16x16_bf16 v[20+0:23+0], v[vgprValuB_X0_I0+8+0+0:vgprValuB_X0_I0+8+0+0+1], v[vgprValuA_X0_I0+2+0+0:vgprValuA_X0_I0+2+0+0+1], v[20:23]
/*  mfmaIndex:6  */
_ds_load_u16_d16_hi v164, v[vgprLocalReadAddrA] offset:898 // L -> Reg lro=256 swapByteOffset=0 ti=64 vIdx=0 rIdx=3 oIdx=0 buffer=1 iui=0
s_sub_u32 s[sgprShadowLimitA+0], s[sgprShadowLimitA+0], s56 // limit -= inc)
v_mfma_f32_16x16x16_bf16 v[28+0:31+0], v[vgprValuB_X0_I0+12+0+0:vgprValuB_X0_I0+12+0+0+1], v[vgprValuA_X0_I0+2+0+0:vgprValuA_X0_I0+2+0+0+1], v[28:31]
/*  mfmaIndex:7  */
_ds_load_b128 v[vgprValuB_X2_I0+4:vgprValuB_X2_I0+4+3], v[vgprLocalReadAddrB] offset:5184 // L -> Reg lro=32 swapByteOffset=0 ti=32 vIdx=1 rIdx=0 oIdx=0 buffer=2 iui=0
s_subb_u32 s[sgprShadowLimitA+1], s[sgprShadowLimitA+1], s57 // limit -= inc)
v_mfma_f32_16x16x16_bf16 v[24+0:27+0], v[vgprValuB_X0_I0+12+0+0:vgprValuB_X0_I0+12+0+0+1], v[vgprValuA_X0_I0+0+0+0:vgprValuA_X0_I0+0+0+0+1], v[24:27]
/*  mfmaIndex:8  */
_ds_load_b128 v[vgprValuB_X2_I0+8:vgprValuB_X2_I0+8+3], v[vgprLocalReadAddrB] offset:10304 // L -> Reg lro=32 swapByteOffset=0 ti=32 vIdx=2 rIdx=0 oIdx=0 buffer=2 iui=0
s_cmp_eq_u32 s[sgprShadowLimitA+1], 0              // are we within 2^32?
v_mfma_f32_16x16x16_bf16 v[32+0:35+0], v[vgprValuB_X0_I0+16+0+0:vgprValuB_X0_I0+16+0+0+1], v[vgprValuA_X0_I0+0+0+0:vgprValuA_X0_I0+0+0+0+1], v[32:35]
/*  mfmaIndex:9  */
_ds_load_b128 v[vgprValuB_X2_I0+12:vgprValuB_X2_I0+12+3], v[vgprLocalReadAddrB] offset:15424 // L -> Reg lro=32 swapByteOffset=0 ti=32 vIdx=3 rIdx=0 oIdx=0 buffer=2 iui=0
s_cselect_b32 s[sgprSrdA+2], s[sgprShadowLimitA+0], BufferLimitA // Move shadow to real if we are within 2^32
v_mfma_f32_16x16x16_bf16 v[36+0:39+0], v[vgprValuB_X0_I0+16+0+0:vgprValuB_X0_I0+16+0+0+1], v[vgprValuA_X0_I0+2+0+0:vgprValuA_X0_I0+2+0+0+1], v[36:39]
/*  mfmaIndex:10  */
_ds_load_b128 v[vgprValuB_X2_I0+16:vgprValuB_X2_I0+16+3], v[vgprLocalReadAddrB] offset:20544 // L -> Reg lro=32 swapByteOffset=0 ti=32 vIdx=4 rIdx=0 oIdx=0 buffer=2 iui=0

/* global read inc B loopL */
s_cmp_eq_u32 s[sgprLoopCounterL], s[sgprStaggerUIter] // Is this the wrapIter?
v_mfma_f32_16x16x16_bf16 v[44+0:47+0], v[vgprValuB_X0_I0+20+0+0:vgprValuB_X0_I0+20+0+0+1], v[vgprValuA_X0_I0+2+0+0:vgprValuA_X0_I0+2+0+0+1], v[44:47]
/*  mfmaIndex:11  */
_ds_load_b128 v[vgprValuB_X2_I0+20:vgprValuB_X2_I0+20+3], v[vgprLocalReadAddrB] offset:25664 // L -> Reg lro=32 swapByteOffset=0 ti=32 vIdx=5 rIdx=0 oIdx=0 buffer=2 iui=0
s_cselect_b32 s56, s[sgprWrapUB+0], s[sgprGlobalReadIncsB+0] // incLower <- ?
v_mfma_f32_16x16x16_bf16 v[40+0:43+0], v[vgprValuB_X0_I0+20+0+0:vgprValuB_X0_I0+20+0+0+1], v[vgprValuA_X0_I0+0+0+0:vgprValuA_X0_I0+0+0+0+1], v[40:43]
/* numPrefetchIter=0 */
/* dataAtIterA=-1 numReadsIterA=1 skipReadsIterA=1 readsPerIterA=8 */
/* dataAtIterB=-1 numReadsIterB=1 skipReadsIterB=1 readsPerIterB=6 */


/* iter 1 */

/*  grEndMfmaIndex:18, lwStartMfmaIndex:31, lwEndMfmaIndex:33  */
/*  numMfmaForLR:11, barrierMfmaIndex:36, LocalWritePerMfma:3.120 */
/*  mfmaIndex:12  */
_ds_load_u16 v[vgprValuA_X2_I0+0], v[vgprLocalReadAddrA] offset:4352 // L -> Reg lro=2048 swapByteOffset=0 ti=64 vIdx=0 rIdx=0 oIdx=0 buffer=2 iui=0
s_cselect_b32 s57, s[sgprWrapUB+1], 0              // incUpper <- ?
s_waitcnt lgkmcnt(1)                               // lgkmcnt=0 vmcnt=-1wait for prior local read local write old=0, new=1 newLW=0 newLR=1
/* pack scheduling: packAIdx:2, packBIdx:0 */
v_or_b32 v[vgprValuA_X1_I0+0], v[vgprValuA_X1_I0+0], v161 // pack two half Vgpr to one Vgpr
v_or_b32 v[vgprValuA_X1_I0+1], v[vgprValuA_X1_I0+1], v162 // pack two half Vgpr to one Vgpr
	;; [unrolled: 1-line block ×4, first 2 shown]
v_mfma_f32_16x16x16_bf16 v[0+0:3+0], v[vgprValuB_X0_I0+0+2+0:vgprValuB_X0_I0+0+2+0+1], v[vgprValuA_X1_I0+0+0+0:vgprValuA_X1_I0+0+0+0+1], v[0:3]
/*  mfmaIndex:13  */
_ds_load_u16_d16_hi v157, v[vgprLocalReadAddrA] offset:4480 // L -> Reg lro=2048 swapByteOffset=0 ti=64 vIdx=0 rIdx=1 oIdx=0 buffer=2 iui=0
s_add_u32 s[sgprSrdB+0], s[sgprSrdB+0], s56        // gra SRD += inc(lower)
v_mfma_f32_16x16x16_bf16 v[4+0:7+0], v[vgprValuB_X0_I0+0+2+0:vgprValuB_X0_I0+0+2+0+1], v[vgprValuA_X1_I0+2+0+0:vgprValuA_X1_I0+2+0+0+1], v[4:7]
/*  mfmaIndex:14  */
_ds_load_u16 v[vgprValuA_X2_I0+1], v[vgprLocalReadAddrA] offset:4608 // L -> Reg lro=2048 swapByteOffset=0 ti=64 vIdx=0 rIdx=2 oIdx=0 buffer=2 iui=0
s_addc_u32  s[sgprSrdB+1], s[sgprSrdB+1], s57      // gra SRD += inc(upper)
v_mfma_f32_16x16x16_bf16 v[12+0:15+0], v[vgprValuB_X0_I0+4+2+0:vgprValuB_X0_I0+4+2+0+1], v[vgprValuA_X1_I0+2+0+0:vgprValuA_X1_I0+2+0+0+1], v[12:15]
/*  mfmaIndex:15  */
_ds_load_u16_d16_hi v158, v[vgprLocalReadAddrA] offset:4736 // L -> Reg lro=2048 swapByteOffset=0 ti=64 vIdx=0 rIdx=3 oIdx=0 buffer=2 iui=0
s_sub_u32 s[sgprShadowLimitB+0], s[sgprShadowLimitB+0], s56 // limit -= inc)
v_mfma_f32_16x16x16_bf16 v[8+0:11+0], v[vgprValuB_X0_I0+4+2+0:vgprValuB_X0_I0+4+2+0+1], v[vgprValuA_X1_I0+0+0+0:vgprValuA_X1_I0+0+0+0+1], v[8:11]
/*  mfmaIndex:16  */
_ds_load_u16 v[vgprValuA_X2_I0+2], v[vgprLocalReadAddrA] offset:4354 // L -> Reg lro=2048 swapByteOffset=0 ti=64 vIdx=0 rIdx=0 oIdx=0 buffer=2 iui=0
s_subb_u32 s[sgprShadowLimitB+1], s[sgprShadowLimitB+1], s57 // limit -= inc)
v_mfma_f32_16x16x16_bf16 v[16+0:19+0], v[vgprValuB_X0_I0+8+2+0:vgprValuB_X0_I0+8+2+0+1], v[vgprValuA_X1_I0+0+0+0:vgprValuA_X1_I0+0+0+0+1], v[16:19]
/*  mfmaIndex:17  */
_ds_load_u16_d16_hi v159, v[vgprLocalReadAddrA] offset:4482 // L -> Reg lro=2048 swapByteOffset=0 ti=64 vIdx=0 rIdx=1 oIdx=0 buffer=2 iui=0
s_cmp_eq_u32 s[sgprShadowLimitB+1], 0              // are we within 2^32?
v_mfma_f32_16x16x16_bf16 v[20+0:23+0], v[vgprValuB_X0_I0+8+2+0:vgprValuB_X0_I0+8+2+0+1], v[vgprValuA_X1_I0+2+0+0:vgprValuA_X1_I0+2+0+0+1], v[20:23]
/*  mfmaIndex:18  */
_ds_load_u16 v[vgprValuA_X2_I0+3], v[vgprLocalReadAddrA] offset:4610 // L -> Reg lro=2048 swapByteOffset=0 ti=64 vIdx=0 rIdx=2 oIdx=0 buffer=2 iui=0
s_cselect_b32 s[sgprSrdB+2], s[sgprShadowLimitB+0], BufferLimitB // Move shadow to real if we are within 2^32
v_mfma_f32_16x16x16_bf16 v[28+0:31+0], v[vgprValuB_X0_I0+12+2+0:vgprValuB_X0_I0+12+2+0+1], v[vgprValuA_X1_I0+2+0+0:vgprValuA_X1_I0+2+0+0+1], v[28:31]
/*  mfmaIndex:19  */
_ds_load_u16_d16_hi v160, v[vgprLocalReadAddrA] offset:4738 // L -> Reg lro=2048 swapByteOffset=0 ti=64 vIdx=0 rIdx=3 oIdx=0 buffer=2 iui=0
v_mfma_f32_16x16x16_bf16 v[24+0:27+0], v[vgprValuB_X0_I0+12+2+0:vgprValuB_X0_I0+12+2+0+1], v[vgprValuA_X1_I0+0+0+0:vgprValuA_X1_I0+0+0+0+1], v[24:27]
/*  mfmaIndex:20  */
/* localReadsVacancy: latencyLeft 2 */
_ds_load_u16 v[vgprValuA_X3_I0+0], v[vgprLocalReadAddrA] offset:4864 // L -> Reg lro=2304 swapByteOffset=0 ti=64 vIdx=0 rIdx=0 oIdx=0 buffer=3 iui=0
v_mfma_f32_16x16x16_bf16 v[32+0:35+0], v[vgprValuB_X0_I0+16+2+0:vgprValuB_X0_I0+16+2+0+1], v[vgprValuA_X1_I0+0+0+0:vgprValuA_X1_I0+0+0+0+1], v[32:35]
/*  mfmaIndex:21  */
/* localReadsVacancy: latencyLeft 2 */
_ds_load_u16 v[vgprValuA_X3_I0+1], v[vgprLocalReadAddrA] offset:5120 // L -> Reg lro=2304 swapByteOffset=0 ti=64 vIdx=0 rIdx=2 oIdx=0 buffer=3 iui=0
	;; [unrolled: 4-line block ×4, first 2 shown]
v_mfma_f32_16x16x16_bf16 v[40+0:43+0], v[vgprValuB_X0_I0+20+2+0:vgprValuB_X0_I0+20+2+0+1], v[vgprValuA_X1_I0+0+0+0:vgprValuA_X1_I0+0+0+0+1], v[40:43]
/* numPrefetchIter=0 */
/* dataAtIterA=0 numReadsIterA=2 skipReadsIterA=1 readsPerIterA=8 */
/* dataAtIterB=-1 numReadsIterB=1 skipReadsIterB=0 readsPerIterB=6 */


/* iter 2 (reset local read pointers iteration)  (swap and reset local write pointers iteration)  (swap local read pointers iteration)  */

/*  grEndMfmaIndex:18, lwStartMfmaIndex:31, lwEndMfmaIndex:33  */
/*  numMfmaForLR:11, barrierMfmaIndex:36, LocalWritePerMfma:3.120 */
/*  mfmaIndex:24  */
_ds_load_u16_d16_hi v161, v[vgprLocalReadAddrA] offset:4992 // L -> Reg lro=2304 swapByteOffset=0 ti=64 vIdx=0 rIdx=1 oIdx=0 buffer=3 iui=0
s_waitcnt lgkmcnt(5)                               // lgkmcnt=0 vmcnt=-1wait for prior local read local write old=4, new=5 newLW=0 newLR=1
/* pack scheduling: packAIdx:2, packBIdx:0 */
v_or_b32 v[vgprValuA_X2_I0+0], v[vgprValuA_X2_I0+0], v157 // pack two half Vgpr to one Vgpr
v_or_b32 v[vgprValuA_X2_I0+1], v[vgprValuA_X2_I0+1], v158 // pack two half Vgpr to one Vgpr
	;; [unrolled: 1-line block ×4, first 2 shown]
v_mfma_f32_16x16x16_bf16 v[0+0:3+0], v[vgprValuB_X2_I0+0+0+0:vgprValuB_X2_I0+0+0+0+1], v[vgprValuA_X2_I0+0+0+0:vgprValuA_X2_I0+0+0+0+1], v[0:3]
/*  mfmaIndex:25  */
_ds_load_u16_d16_hi v162, v[vgprLocalReadAddrA] offset:5248 // L -> Reg lro=2304 swapByteOffset=0 ti=64 vIdx=0 rIdx=3 oIdx=0 buffer=3 iui=0
v_mfma_f32_16x16x16_bf16 v[4+0:7+0], v[vgprValuB_X2_I0+0+0+0:vgprValuB_X2_I0+0+0+0+1], v[vgprValuA_X2_I0+2+0+0:vgprValuA_X2_I0+2+0+0+1], v[4:7]
/*  mfmaIndex:26  */
_ds_load_u16_d16_hi v163, v[vgprLocalReadAddrA] offset:4994 // L -> Reg lro=2304 swapByteOffset=0 ti=64 vIdx=0 rIdx=1 oIdx=0 buffer=3 iui=0
	;; [unrolled: 3-line block ×3, first 2 shown]
v_mfma_f32_16x16x16_bf16 v[8+0:11+0], v[vgprValuB_X2_I0+4+0+0:vgprValuB_X2_I0+4+0+0+1], v[vgprValuA_X2_I0+0+0+0:vgprValuA_X2_I0+0+0+0+1], v[8:11]
/*  mfmaIndex:28  */
/* localReadsVacancy: latencyLeft 2 */
v_mfma_f32_16x16x16_bf16 v[16+0:19+0], v[vgprValuB_X2_I0+8+0+0:vgprValuB_X2_I0+8+0+0+1], v[vgprValuA_X2_I0+0+0+0:vgprValuA_X2_I0+0+0+0+1], v[16:19]
/*  mfmaIndex:29  */
/* localReadsVacancy: latencyLeft 2 */
	;; [unrolled: 3-line block ×3, first 2 shown]
/* 1 LDS buffer: read-sync-write */
s_waitcnt lgkmcnt(0)                               // 
s_barrier                                          // 
v_mfma_f32_16x16x16_bf16 v[28+0:31+0], v[vgprValuB_X2_I0+12+0+0:vgprValuB_X2_I0+12+0+0+1], v[vgprValuA_X2_I0+2+0+0:vgprValuA_X2_I0+2+0+0+1], v[28:31]
/*  mfmaIndex:31  */
s_setprio 3                                        // store optimization
/* sched write - iter 2 writesPerItem=1 */
s_waitcnt vmcnt(0)                                 // lgkmcnt=-1 vmcnt=0wait for global read before writing to local
_ds_store_b128 v[vgprLocalWriteAddrA], v[vgprG2LA+0:vgprG2LA+0+3] offset:0 // lwoA_0_0_0_0 = (0*LSCA) + (0*LSPA)(*MT0I+PAD) = 0
_buffer_load_b128 v[vgprG2LA+0:vgprG2LA+0+3], v[vgprGlobalReadOffsetA+0], s[sgprSrdA:sgprSrdA+3], 0, offen offset:0 // G -> Reg 0_0_0_0
/* sched write - iter 2 writesPerItem=1 */
s_waitcnt vmcnt(0)                                 // lgkmcnt=-1 vmcnt=0wait for global read before writing to local
_ds_store_b128 v[vgprLocalWriteAddrA], v[vgprG2LA+4:vgprG2LA+4+3] offset:4352 // lwoA_0_0_1_0 = (0*LSCA) + (1*LSPA)(*MT0I+PAD) = 4352
_buffer_load_b128 v[vgprG2LA+4:vgprG2LA+4+3], v[vgprGlobalReadOffsetA+1], s[sgprSrdA:sgprSrdA+3], 0, offen offset:0 // G -> Reg 0_0_1_0
/* sched write - iter 2 writesPerItem=1 */
s_waitcnt vmcnt(0)                                 // lgkmcnt=-1 vmcnt=0wait for global read before writing to local
_ds_store_b128 v[vgprLocalWriteAddrB], v[vgprG2LB+0:vgprG2LB+0+3] offset:0 // lwoB_0_0_0_0 = (0*LSCB)*(MT1J+PAD) + (0*LSPB) = 0
_buffer_load_b128 v[vgprG2LB+0:vgprG2LB+0+3], v[vgprGlobalReadOffsetB+0], s[sgprSrdB:sgprSrdB+3], 0, offen offset:0 // G -> Reg 0_0_0_0
/* sched write - iter 2 writesPerItem=1 */
s_waitcnt vmcnt(0)                                 // lgkmcnt=-1 vmcnt=0wait for global read before writing to local
_ds_store_b128 v[vgprLocalWriteAddrB], v[vgprG2LB+4:vgprG2LB+4+3] offset:5120 // lwoB_0_0_1_0 = (0*LSCB)*(MT1J+PAD) + (1*LSPB) = 5120
v_mfma_f32_16x16x16_bf16 v[24+0:27+0], v[vgprValuB_X2_I0+12+0+0:vgprValuB_X2_I0+12+0+0+1], v[vgprValuA_X2_I0+0+0+0:vgprValuA_X2_I0+0+0+0+1], v[24:27]
/*  mfmaIndex:32  */
_buffer_load_b128 v[vgprG2LB+4:vgprG2LB+4+3], v[vgprGlobalReadOffsetB+1], s[sgprSrdB:sgprSrdB+3], 0, offen offset:0 // G -> Reg 0_0_1_0
/* sched write - iter 2 writesPerItem=1 */
s_waitcnt vmcnt(0)                                 // lgkmcnt=-1 vmcnt=0wait for global read before writing to local
_ds_store_b128 v[vgprLocalWriteAddrB], v[vgprG2LB+8:vgprG2LB+8+3] offset:10240 // lwoB_0_0_2_0 = (0*LSCB)*(MT1J+PAD) + (2*LSPB) = 10240
_buffer_load_b128 v[vgprG2LB+8:vgprG2LB+8+3], v[vgprGlobalReadOffsetB+2], s[sgprSrdB:sgprSrdB+3], 0, offen offset:0 // G -> Reg 0_0_2_0
/* sched write - iter 2 writesPerItem=1 */
s_waitcnt vmcnt(0)                                 // lgkmcnt=-1 vmcnt=0wait for global read before writing to local
_ds_store_b128 v[vgprLocalWriteAddrB], v[vgprG2LB+12:vgprG2LB+12+3] offset:15360 // lwoB_0_0_3_0 = (0*LSCB)*(MT1J+PAD) + (3*LSPB) = 15360
_buffer_load_b128 v[vgprG2LB+12:vgprG2LB+12+3], v[vgprGlobalReadOffsetB+3], s[sgprSrdB:sgprSrdB+3], 0, offen offset:0 // G -> Reg 0_0_3_0
/* sched write - iter 2 writesPerItem=1 */
s_waitcnt vmcnt(0)                                 // lgkmcnt=-1 vmcnt=0wait for global read before writing to local
_ds_store_b128 v[vgprLocalWriteAddrB], v[vgprG2LB+16:vgprG2LB+16+3] offset:20480 // lwoB_0_0_4_0 = (0*LSCB)*(MT1J+PAD) + (4*LSPB) = 20480
_buffer_load_b128 v[vgprG2LB+16:vgprG2LB+16+3], v[vgprGlobalReadOffsetB+4], s[sgprSrdB:sgprSrdB+3], 0, offen offset:0 // G -> Reg 0_0_4_0
v_mfma_f32_16x16x16_bf16 v[32+0:35+0], v[vgprValuB_X2_I0+16+0+0:vgprValuB_X2_I0+16+0+0+1], v[vgprValuA_X2_I0+0+0+0:vgprValuA_X2_I0+0+0+0+1], v[32:35]
/*  mfmaIndex:33  */
/* sched write - iter 2 writesPerItem=1 */
s_waitcnt vmcnt(0)                                 // lgkmcnt=-1 vmcnt=0wait for global read before writing to local
_ds_store_b128 v[vgprLocalWriteAddrB], v[vgprG2LB+20:vgprG2LB+20+3] offset:25600 // lwoB_0_0_5_0 = (0*LSCB)*(MT1J+PAD) + (5*LSPB) = 25600
_buffer_load_b128 v[vgprG2LB+20:vgprG2LB+20+3], v[vgprGlobalReadOffsetB+5], s[sgprSrdB:sgprSrdB+3], 0, offen offset:0 // G -> Reg 0_0_5_0

/* local write swap offsets a */

/* local write swap offsets b */
v_mfma_f32_16x16x16_bf16 v[36+0:39+0], v[vgprValuB_X2_I0+16+0+0:vgprValuB_X2_I0+16+0+0+1], v[vgprValuA_X2_I0+2+0+0:vgprValuA_X2_I0+2+0+0+1], v[36:39]
/*  mfmaIndex:34  */
v_mfma_f32_16x16x16_bf16 v[44+0:47+0], v[vgprValuB_X2_I0+20+0+0:vgprValuB_X2_I0+20+0+0+1], v[vgprValuA_X2_I0+2+0+0:vgprValuA_X2_I0+2+0+0+1], v[44:47]
/*  mfmaIndex:35  */

/* local read swap offsets a */

/* local read swap offsets b */

/* local read init pointers a */

/* localReadInitPointers */

/* local read init pointers b */

/* localReadInitPointers */
v_mfma_f32_16x16x16_bf16 v[40+0:43+0], v[vgprValuB_X2_I0+20+0+0:vgprValuB_X2_I0+20+0+0+1], v[vgprValuA_X2_I0+0+0+0:vgprValuA_X2_I0+0+0+0+1], v[40:43]
s_setprio 0                                        // store optimization
/* numPrefetchIter=0 */
/* dataAtIterA=1 numReadsIterA=3 skipReadsIterA=1 readsPerIterA=8 */
/* dataAtIterB=0 numReadsIterB=1 skipReadsIterB=0 readsPerIterB=6 */


/* iter 3 */

/*  grEndMfmaIndex:18, lwStartMfmaIndex:31, lwEndMfmaIndex:33  */
/*  numMfmaForLR:11, barrierMfmaIndex:36, LocalWritePerMfma:3.120 */
/*  mfmaIndex:36  */
s_waitcnt lgkmcnt(0)                               // lgkmcnt=0 vmcnt=-13wait for local write
// Skip force waitcnt0
s_barrier //
/* pack scheduling: packAIdx:2, packBIdx:0 */
v_or_b32 v[vgprValuA_X3_I0+0], v[vgprValuA_X3_I0+0], v161 // pack two half Vgpr to one Vgpr
v_or_b32 v[vgprValuA_X3_I0+1], v[vgprValuA_X3_I0+1], v162 // pack two half Vgpr to one Vgpr
v_or_b32 v[vgprValuA_X3_I0+2], v[vgprValuA_X3_I0+2], v163 // pack two half Vgpr to one Vgpr
v_or_b32 v[vgprValuA_X3_I0+3], v[vgprValuA_X3_I0+3], v164 // pack two half Vgpr to one Vgpr
v_mfma_f32_16x16x16_bf16 v[0+0:3+0], v[vgprValuB_X2_I0+0+2+0:vgprValuB_X2_I0+0+2+0+1], v[vgprValuA_X3_I0+0+0+0:vgprValuA_X3_I0+0+0+0+1], v[0:3]
/*  mfmaIndex:37  */
s_setprio 3                                        // store optimization
_ds_load_u16 v[vgprValuA_X0_I0+0], v[vgprLocalReadAddrA] offset:0 // L -> Reg lro=0 swapByteOffset=0 ti=64 vIdx=0 rIdx=0 oIdx=0 buffer=0 iui=0
_ds_load_u16_d16_hi v157, v[vgprLocalReadAddrA] offset:128 // L -> Reg lro=0 swapByteOffset=0 ti=64 vIdx=0 rIdx=1 oIdx=0 buffer=0 iui=0
v_mfma_f32_16x16x16_bf16 v[4+0:7+0], v[vgprValuB_X2_I0+0+2+0:vgprValuB_X2_I0+0+2+0+1], v[vgprValuA_X3_I0+2+0+0:vgprValuA_X3_I0+2+0+0+1], v[4:7]
/*  mfmaIndex:38  */
_ds_load_u16 v[vgprValuA_X0_I0+1], v[vgprLocalReadAddrA] offset:256 // L -> Reg lro=0 swapByteOffset=0 ti=64 vIdx=0 rIdx=2 oIdx=0 buffer=0 iui=0
_ds_load_u16_d16_hi v158, v[vgprLocalReadAddrA] offset:384 // L -> Reg lro=0 swapByteOffset=0 ti=64 vIdx=0 rIdx=3 oIdx=0 buffer=0 iui=0
v_mfma_f32_16x16x16_bf16 v[12+0:15+0], v[vgprValuB_X2_I0+4+2+0:vgprValuB_X2_I0+4+2+0+1], v[vgprValuA_X3_I0+2+0+0:vgprValuA_X3_I0+2+0+0+1], v[12:15]
/*  mfmaIndex:39  */
_ds_load_b128 v[vgprValuB_X0_I0+0:vgprValuB_X0_I0+0+3], v[vgprLocalReadAddrB] offset:0 // L -> Reg lro=0 swapByteOffset=0 ti=32 vIdx=0 rIdx=0 oIdx=0 buffer=0 iui=0
_ds_load_u16 v[vgprValuA_X0_I0+2], v[vgprLocalReadAddrA] offset:2 // L -> Reg lro=0 swapByteOffset=0 ti=64 vIdx=0 rIdx=0 oIdx=0 buffer=0 iui=0
v_mfma_f32_16x16x16_bf16 v[8+0:11+0], v[vgprValuB_X2_I0+4+2+0:vgprValuB_X2_I0+4+2+0+1], v[vgprValuA_X3_I0+0+0+0:vgprValuA_X3_I0+0+0+0+1], v[8:11]
/*  mfmaIndex:40  */
_ds_load_u16_d16_hi v159, v[vgprLocalReadAddrA] offset:130 // L -> Reg lro=0 swapByteOffset=0 ti=64 vIdx=0 rIdx=1 oIdx=0 buffer=0 iui=0
v_mfma_f32_16x16x16_bf16 v[16+0:19+0], v[vgprValuB_X2_I0+8+2+0:vgprValuB_X2_I0+8+2+0+1], v[vgprValuA_X3_I0+0+0+0:vgprValuA_X3_I0+0+0+0+1], v[16:19]
/*  mfmaIndex:41  */
_ds_load_u16 v[vgprValuA_X0_I0+3], v[vgprLocalReadAddrA] offset:258 // L -> Reg lro=0 swapByteOffset=0 ti=64 vIdx=0 rIdx=2 oIdx=0 buffer=0 iui=0
v_mfma_f32_16x16x16_bf16 v[20+0:23+0], v[vgprValuB_X2_I0+8+2+0:vgprValuB_X2_I0+8+2+0+1], v[vgprValuA_X3_I0+2+0+0:vgprValuA_X3_I0+2+0+0+1], v[20:23]
/*  mfmaIndex:42  */
_ds_load_u16_d16_hi v160, v[vgprLocalReadAddrA] offset:386 // L -> Reg lro=0 swapByteOffset=0 ti=64 vIdx=0 rIdx=3 oIdx=0 buffer=0 iui=0
v_mfma_f32_16x16x16_bf16 v[28+0:31+0], v[vgprValuB_X2_I0+12+2+0:vgprValuB_X2_I0+12+2+0+1], v[vgprValuA_X3_I0+2+0+0:vgprValuA_X3_I0+2+0+0+1], v[28:31]
/*  mfmaIndex:43  */
_ds_load_b128 v[vgprValuB_X0_I0+4:vgprValuB_X0_I0+4+3], v[vgprLocalReadAddrB] offset:5120 // L -> Reg lro=0 swapByteOffset=0 ti=32 vIdx=1 rIdx=0 oIdx=0 buffer=0 iui=0
v_mfma_f32_16x16x16_bf16 v[24+0:27+0], v[vgprValuB_X2_I0+12+2+0:vgprValuB_X2_I0+12+2+0+1], v[vgprValuA_X3_I0+0+0+0:vgprValuA_X3_I0+0+0+0+1], v[24:27]
/*  mfmaIndex:44  */
_ds_load_b128 v[vgprValuB_X0_I0+8:vgprValuB_X0_I0+8+3], v[vgprLocalReadAddrB] offset:10240 // L -> Reg lro=0 swapByteOffset=0 ti=32 vIdx=2 rIdx=0 oIdx=0 buffer=0 iui=0
	;; [unrolled: 3-line block ×5, first 2 shown]
v_mfma_f32_16x16x16_bf16 v[40+0:43+0], v[vgprValuB_X2_I0+20+2+0:vgprValuB_X2_I0+20+2+0+1], v[vgprValuA_X3_I0+0+0+0:vgprValuA_X3_I0+0+0+0+1], v[40:43]
s_setprio 0                                        // store optimization


/******************************************/
/* Unrolled Loop - End 1/2                */
/******************************************/


/* closeLoop loopL finalLoop=0 tailLoop=0 */
s_sub_u32 s[sgprLoopCounterL], s[sgprLoopCounterL], 1 // dec counterL
s_cmp_eq_i32 s[sgprLoopCounterL], 0x2              // counterL==2
s_cbranch_scc1 LoopEndL_oddexit_3                  // exit LoopL


/******************************************/
/* Unrolled Loop 2/2 - Begin              */
/******************************************/

label_0016: // LoopCopy2 


/* Begin Each Unroll: Check VGPR.checkin for INT8 LW */


	;; [unrolled: 1-line block ×3, first 2 shown]
/* iter 0 */

/*  grEndMfmaIndex:18, lwStartMfmaIndex:31, lwEndMfmaIndex:33  */
/*  numMfmaForLR:11, barrierMfmaIndex:36, LocalWritePerMfma:3.120 */
/*  mfmaIndex:0  */
s_waitcnt lgkmcnt(0)                               // lgkmcnt=0 vmcnt=-1wait for prior local read local write old=0, new=0 newLW=0 newLR=0
/* pack scheduling: packAIdx:2, packBIdx:0 */
v_or_b32 v[vgprValuA_X0_I0+0], v[vgprValuA_X0_I0+0], v157 // pack two half Vgpr to one Vgpr
v_or_b32 v[vgprValuA_X0_I0+1], v[vgprValuA_X0_I0+1], v158 // pack two half Vgpr to one Vgpr
	;; [unrolled: 1-line block ×4, first 2 shown]
v_mfma_f32_16x16x16_bf16 v[0+0:3+0], v[vgprValuB_X0_I0+0+0+0:vgprValuB_X0_I0+0+0+0+1], v[vgprValuA_X0_I0+0+0+0:vgprValuA_X0_I0+0+0+0+1], v[0:3]
/*  mfmaIndex:1  */
_ds_load_u16 v[vgprValuA_X1_I0+0], v[vgprLocalReadAddrA] offset:512 // L -> Reg lro=256 swapByteOffset=0 ti=64 vIdx=0 rIdx=0 oIdx=0 buffer=1 iui=0
_ds_load_u16_d16_hi v161, v[vgprLocalReadAddrA] offset:640 // L -> Reg lro=256 swapByteOffset=0 ti=64 vIdx=0 rIdx=1 oIdx=0 buffer=1 iui=0

/* global read inc A loopL */
s_cmp_eq_u32 s[sgprLoopCounterL], s[sgprStaggerUIter] // Is this the wrapIter?
v_mfma_f32_16x16x16_bf16 v[4+0:7+0], v[vgprValuB_X0_I0+0+0+0:vgprValuB_X0_I0+0+0+0+1], v[vgprValuA_X0_I0+2+0+0:vgprValuA_X0_I0+2+0+0+1], v[4:7]
/*  mfmaIndex:2  */
_ds_load_u16 v[vgprValuA_X1_I0+1], v[vgprLocalReadAddrA] offset:768 // L -> Reg lro=256 swapByteOffset=0 ti=64 vIdx=0 rIdx=2 oIdx=0 buffer=1 iui=0
_ds_load_u16_d16_hi v162, v[vgprLocalReadAddrA] offset:896 // L -> Reg lro=256 swapByteOffset=0 ti=64 vIdx=0 rIdx=3 oIdx=0 buffer=1 iui=0
s_cselect_b32 s56, s[sgprWrapUA+0], s[sgprGlobalReadIncsA+0] // incLower <- ?
v_mfma_f32_16x16x16_bf16 v[12+0:15+0], v[vgprValuB_X0_I0+4+0+0:vgprValuB_X0_I0+4+0+0+1], v[vgprValuA_X0_I0+2+0+0:vgprValuA_X0_I0+2+0+0+1], v[12:15]
/*  mfmaIndex:3  */
_ds_load_b128 v[vgprValuB_X2_I0+0:vgprValuB_X2_I0+0+3], v[vgprLocalReadAddrB] offset:64 // L -> Reg lro=32 swapByteOffset=0 ti=32 vIdx=0 rIdx=0 oIdx=0 buffer=2 iui=0
_ds_load_u16 v[vgprValuA_X1_I0+2], v[vgprLocalReadAddrA] offset:514 // L -> Reg lro=256 swapByteOffset=0 ti=64 vIdx=0 rIdx=0 oIdx=0 buffer=1 iui=0
s_cselect_b32 s57, s[sgprWrapUA+1], 0              // incUpper <- ?
v_mfma_f32_16x16x16_bf16 v[8+0:11+0], v[vgprValuB_X0_I0+4+0+0:vgprValuB_X0_I0+4+0+0+1], v[vgprValuA_X0_I0+0+0+0:vgprValuA_X0_I0+0+0+0+1], v[8:11]
/*  mfmaIndex:4  */
_ds_load_u16_d16_hi v163, v[vgprLocalReadAddrA] offset:642 // L -> Reg lro=256 swapByteOffset=0 ti=64 vIdx=0 rIdx=1 oIdx=0 buffer=1 iui=0
s_add_u32 s[sgprSrdA+0], s[sgprSrdA+0], s56        // gra SRD += inc(lower)
v_mfma_f32_16x16x16_bf16 v[16+0:19+0], v[vgprValuB_X0_I0+8+0+0:vgprValuB_X0_I0+8+0+0+1], v[vgprValuA_X0_I0+0+0+0:vgprValuA_X0_I0+0+0+0+1], v[16:19]
/*  mfmaIndex:5  */
_ds_load_u16 v[vgprValuA_X1_I0+3], v[vgprLocalReadAddrA] offset:770 // L -> Reg lro=256 swapByteOffset=0 ti=64 vIdx=0 rIdx=2 oIdx=0 buffer=1 iui=0
s_addc_u32  s[sgprSrdA+1], s[sgprSrdA+1], s57      // gra SRD += inc(upper)
v_mfma_f32_16x16x16_bf16 v[20+0:23+0], v[vgprValuB_X0_I0+8+0+0:vgprValuB_X0_I0+8+0+0+1], v[vgprValuA_X0_I0+2+0+0:vgprValuA_X0_I0+2+0+0+1], v[20:23]
/*  mfmaIndex:6  */
_ds_load_u16_d16_hi v164, v[vgprLocalReadAddrA] offset:898 // L -> Reg lro=256 swapByteOffset=0 ti=64 vIdx=0 rIdx=3 oIdx=0 buffer=1 iui=0
s_sub_u32 s[sgprShadowLimitA+0], s[sgprShadowLimitA+0], s56 // limit -= inc)
v_mfma_f32_16x16x16_bf16 v[28+0:31+0], v[vgprValuB_X0_I0+12+0+0:vgprValuB_X0_I0+12+0+0+1], v[vgprValuA_X0_I0+2+0+0:vgprValuA_X0_I0+2+0+0+1], v[28:31]
/*  mfmaIndex:7  */
_ds_load_b128 v[vgprValuB_X2_I0+4:vgprValuB_X2_I0+4+3], v[vgprLocalReadAddrB] offset:5184 // L -> Reg lro=32 swapByteOffset=0 ti=32 vIdx=1 rIdx=0 oIdx=0 buffer=2 iui=0
s_subb_u32 s[sgprShadowLimitA+1], s[sgprShadowLimitA+1], s57 // limit -= inc)
v_mfma_f32_16x16x16_bf16 v[24+0:27+0], v[vgprValuB_X0_I0+12+0+0:vgprValuB_X0_I0+12+0+0+1], v[vgprValuA_X0_I0+0+0+0:vgprValuA_X0_I0+0+0+0+1], v[24:27]
/*  mfmaIndex:8  */
_ds_load_b128 v[vgprValuB_X2_I0+8:vgprValuB_X2_I0+8+3], v[vgprLocalReadAddrB] offset:10304 // L -> Reg lro=32 swapByteOffset=0 ti=32 vIdx=2 rIdx=0 oIdx=0 buffer=2 iui=0
s_cmp_eq_u32 s[sgprShadowLimitA+1], 0              // are we within 2^32?
v_mfma_f32_16x16x16_bf16 v[32+0:35+0], v[vgprValuB_X0_I0+16+0+0:vgprValuB_X0_I0+16+0+0+1], v[vgprValuA_X0_I0+0+0+0:vgprValuA_X0_I0+0+0+0+1], v[32:35]
/*  mfmaIndex:9  */
_ds_load_b128 v[vgprValuB_X2_I0+12:vgprValuB_X2_I0+12+3], v[vgprLocalReadAddrB] offset:15424 // L -> Reg lro=32 swapByteOffset=0 ti=32 vIdx=3 rIdx=0 oIdx=0 buffer=2 iui=0
s_cselect_b32 s[sgprSrdA+2], s[sgprShadowLimitA+0], BufferLimitA // Move shadow to real if we are within 2^32
v_mfma_f32_16x16x16_bf16 v[36+0:39+0], v[vgprValuB_X0_I0+16+0+0:vgprValuB_X0_I0+16+0+0+1], v[vgprValuA_X0_I0+2+0+0:vgprValuA_X0_I0+2+0+0+1], v[36:39]
/*  mfmaIndex:10  */
_ds_load_b128 v[vgprValuB_X2_I0+16:vgprValuB_X2_I0+16+3], v[vgprLocalReadAddrB] offset:20544 // L -> Reg lro=32 swapByteOffset=0 ti=32 vIdx=4 rIdx=0 oIdx=0 buffer=2 iui=0

/* global read inc B loopL */
s_cmp_eq_u32 s[sgprLoopCounterL], s[sgprStaggerUIter] // Is this the wrapIter?
v_mfma_f32_16x16x16_bf16 v[44+0:47+0], v[vgprValuB_X0_I0+20+0+0:vgprValuB_X0_I0+20+0+0+1], v[vgprValuA_X0_I0+2+0+0:vgprValuA_X0_I0+2+0+0+1], v[44:47]
/*  mfmaIndex:11  */
_ds_load_b128 v[vgprValuB_X2_I0+20:vgprValuB_X2_I0+20+3], v[vgprLocalReadAddrB] offset:25664 // L -> Reg lro=32 swapByteOffset=0 ti=32 vIdx=5 rIdx=0 oIdx=0 buffer=2 iui=0
s_cselect_b32 s56, s[sgprWrapUB+0], s[sgprGlobalReadIncsB+0] // incLower <- ?
v_mfma_f32_16x16x16_bf16 v[40+0:43+0], v[vgprValuB_X0_I0+20+0+0:vgprValuB_X0_I0+20+0+0+1], v[vgprValuA_X0_I0+0+0+0:vgprValuA_X0_I0+0+0+0+1], v[40:43]
/* numPrefetchIter=0 */
/* dataAtIterA=-1 numReadsIterA=1 skipReadsIterA=1 readsPerIterA=8 */
/* dataAtIterB=-1 numReadsIterB=1 skipReadsIterB=1 readsPerIterB=6 */


/* iter 1 */

/*  grEndMfmaIndex:18, lwStartMfmaIndex:31, lwEndMfmaIndex:33  */
/*  numMfmaForLR:11, barrierMfmaIndex:36, LocalWritePerMfma:3.120 */
/*  mfmaIndex:12  */
_ds_load_u16 v[vgprValuA_X2_I0+0], v[vgprLocalReadAddrA] offset:4352 // L -> Reg lro=2048 swapByteOffset=0 ti=64 vIdx=0 rIdx=0 oIdx=0 buffer=2 iui=0
s_cselect_b32 s57, s[sgprWrapUB+1], 0              // incUpper <- ?
s_waitcnt lgkmcnt(1)                               // lgkmcnt=0 vmcnt=-1wait for prior local read local write old=0, new=1 newLW=0 newLR=1
/* pack scheduling: packAIdx:2, packBIdx:0 */
v_or_b32 v[vgprValuA_X1_I0+0], v[vgprValuA_X1_I0+0], v161 // pack two half Vgpr to one Vgpr
v_or_b32 v[vgprValuA_X1_I0+1], v[vgprValuA_X1_I0+1], v162 // pack two half Vgpr to one Vgpr
	;; [unrolled: 1-line block ×4, first 2 shown]
v_mfma_f32_16x16x16_bf16 v[0+0:3+0], v[vgprValuB_X0_I0+0+2+0:vgprValuB_X0_I0+0+2+0+1], v[vgprValuA_X1_I0+0+0+0:vgprValuA_X1_I0+0+0+0+1], v[0:3]
/*  mfmaIndex:13  */
_ds_load_u16_d16_hi v157, v[vgprLocalReadAddrA] offset:4480 // L -> Reg lro=2048 swapByteOffset=0 ti=64 vIdx=0 rIdx=1 oIdx=0 buffer=2 iui=0
s_add_u32 s[sgprSrdB+0], s[sgprSrdB+0], s56        // gra SRD += inc(lower)
v_mfma_f32_16x16x16_bf16 v[4+0:7+0], v[vgprValuB_X0_I0+0+2+0:vgprValuB_X0_I0+0+2+0+1], v[vgprValuA_X1_I0+2+0+0:vgprValuA_X1_I0+2+0+0+1], v[4:7]
/*  mfmaIndex:14  */
_ds_load_u16 v[vgprValuA_X2_I0+1], v[vgprLocalReadAddrA] offset:4608 // L -> Reg lro=2048 swapByteOffset=0 ti=64 vIdx=0 rIdx=2 oIdx=0 buffer=2 iui=0
s_addc_u32  s[sgprSrdB+1], s[sgprSrdB+1], s57      // gra SRD += inc(upper)
v_mfma_f32_16x16x16_bf16 v[12+0:15+0], v[vgprValuB_X0_I0+4+2+0:vgprValuB_X0_I0+4+2+0+1], v[vgprValuA_X1_I0+2+0+0:vgprValuA_X1_I0+2+0+0+1], v[12:15]
/*  mfmaIndex:15  */
_ds_load_u16_d16_hi v158, v[vgprLocalReadAddrA] offset:4736 // L -> Reg lro=2048 swapByteOffset=0 ti=64 vIdx=0 rIdx=3 oIdx=0 buffer=2 iui=0
s_sub_u32 s[sgprShadowLimitB+0], s[sgprShadowLimitB+0], s56 // limit -= inc)
v_mfma_f32_16x16x16_bf16 v[8+0:11+0], v[vgprValuB_X0_I0+4+2+0:vgprValuB_X0_I0+4+2+0+1], v[vgprValuA_X1_I0+0+0+0:vgprValuA_X1_I0+0+0+0+1], v[8:11]
/*  mfmaIndex:16  */
_ds_load_u16 v[vgprValuA_X2_I0+2], v[vgprLocalReadAddrA] offset:4354 // L -> Reg lro=2048 swapByteOffset=0 ti=64 vIdx=0 rIdx=0 oIdx=0 buffer=2 iui=0
s_subb_u32 s[sgprShadowLimitB+1], s[sgprShadowLimitB+1], s57 // limit -= inc)
v_mfma_f32_16x16x16_bf16 v[16+0:19+0], v[vgprValuB_X0_I0+8+2+0:vgprValuB_X0_I0+8+2+0+1], v[vgprValuA_X1_I0+0+0+0:vgprValuA_X1_I0+0+0+0+1], v[16:19]
/*  mfmaIndex:17  */
_ds_load_u16_d16_hi v159, v[vgprLocalReadAddrA] offset:4482 // L -> Reg lro=2048 swapByteOffset=0 ti=64 vIdx=0 rIdx=1 oIdx=0 buffer=2 iui=0
s_cmp_eq_u32 s[sgprShadowLimitB+1], 0              // are we within 2^32?
v_mfma_f32_16x16x16_bf16 v[20+0:23+0], v[vgprValuB_X0_I0+8+2+0:vgprValuB_X0_I0+8+2+0+1], v[vgprValuA_X1_I0+2+0+0:vgprValuA_X1_I0+2+0+0+1], v[20:23]
/*  mfmaIndex:18  */
_ds_load_u16 v[vgprValuA_X2_I0+3], v[vgprLocalReadAddrA] offset:4610 // L -> Reg lro=2048 swapByteOffset=0 ti=64 vIdx=0 rIdx=2 oIdx=0 buffer=2 iui=0
s_cselect_b32 s[sgprSrdB+2], s[sgprShadowLimitB+0], BufferLimitB // Move shadow to real if we are within 2^32
v_mfma_f32_16x16x16_bf16 v[28+0:31+0], v[vgprValuB_X0_I0+12+2+0:vgprValuB_X0_I0+12+2+0+1], v[vgprValuA_X1_I0+2+0+0:vgprValuA_X1_I0+2+0+0+1], v[28:31]
/*  mfmaIndex:19  */
_ds_load_u16_d16_hi v160, v[vgprLocalReadAddrA] offset:4738 // L -> Reg lro=2048 swapByteOffset=0 ti=64 vIdx=0 rIdx=3 oIdx=0 buffer=2 iui=0
v_mfma_f32_16x16x16_bf16 v[24+0:27+0], v[vgprValuB_X0_I0+12+2+0:vgprValuB_X0_I0+12+2+0+1], v[vgprValuA_X1_I0+0+0+0:vgprValuA_X1_I0+0+0+0+1], v[24:27]
/*  mfmaIndex:20  */
/* localReadsVacancy: latencyLeft 2 */
_ds_load_u16 v[vgprValuA_X3_I0+0], v[vgprLocalReadAddrA] offset:4864 // L -> Reg lro=2304 swapByteOffset=0 ti=64 vIdx=0 rIdx=0 oIdx=0 buffer=3 iui=0
v_mfma_f32_16x16x16_bf16 v[32+0:35+0], v[vgprValuB_X0_I0+16+2+0:vgprValuB_X0_I0+16+2+0+1], v[vgprValuA_X1_I0+0+0+0:vgprValuA_X1_I0+0+0+0+1], v[32:35]
/*  mfmaIndex:21  */
/* localReadsVacancy: latencyLeft 2 */
_ds_load_u16 v[vgprValuA_X3_I0+1], v[vgprLocalReadAddrA] offset:5120 // L -> Reg lro=2304 swapByteOffset=0 ti=64 vIdx=0 rIdx=2 oIdx=0 buffer=3 iui=0
	;; [unrolled: 4-line block ×4, first 2 shown]
v_mfma_f32_16x16x16_bf16 v[40+0:43+0], v[vgprValuB_X0_I0+20+2+0:vgprValuB_X0_I0+20+2+0+1], v[vgprValuA_X1_I0+0+0+0:vgprValuA_X1_I0+0+0+0+1], v[40:43]
/* numPrefetchIter=0 */
/* dataAtIterA=0 numReadsIterA=2 skipReadsIterA=1 readsPerIterA=8 */
/* dataAtIterB=-1 numReadsIterB=1 skipReadsIterB=0 readsPerIterB=6 */


/* iter 2 (reset local read pointers iteration)  (swap and reset local write pointers iteration)  (swap local read pointers iteration)  */

/*  grEndMfmaIndex:18, lwStartMfmaIndex:31, lwEndMfmaIndex:33  */
/*  numMfmaForLR:11, barrierMfmaIndex:36, LocalWritePerMfma:3.120 */
/*  mfmaIndex:24  */
_ds_load_u16_d16_hi v161, v[vgprLocalReadAddrA] offset:4992 // L -> Reg lro=2304 swapByteOffset=0 ti=64 vIdx=0 rIdx=1 oIdx=0 buffer=3 iui=0
s_waitcnt lgkmcnt(5)                               // lgkmcnt=0 vmcnt=-1wait for prior local read local write old=4, new=5 newLW=0 newLR=1
/* pack scheduling: packAIdx:2, packBIdx:0 */
v_or_b32 v[vgprValuA_X2_I0+0], v[vgprValuA_X2_I0+0], v157 // pack two half Vgpr to one Vgpr
v_or_b32 v[vgprValuA_X2_I0+1], v[vgprValuA_X2_I0+1], v158 // pack two half Vgpr to one Vgpr
	;; [unrolled: 1-line block ×4, first 2 shown]
v_mfma_f32_16x16x16_bf16 v[0+0:3+0], v[vgprValuB_X2_I0+0+0+0:vgprValuB_X2_I0+0+0+0+1], v[vgprValuA_X2_I0+0+0+0:vgprValuA_X2_I0+0+0+0+1], v[0:3]
/*  mfmaIndex:25  */
_ds_load_u16_d16_hi v162, v[vgprLocalReadAddrA] offset:5248 // L -> Reg lro=2304 swapByteOffset=0 ti=64 vIdx=0 rIdx=3 oIdx=0 buffer=3 iui=0
v_mfma_f32_16x16x16_bf16 v[4+0:7+0], v[vgprValuB_X2_I0+0+0+0:vgprValuB_X2_I0+0+0+0+1], v[vgprValuA_X2_I0+2+0+0:vgprValuA_X2_I0+2+0+0+1], v[4:7]
/*  mfmaIndex:26  */
_ds_load_u16_d16_hi v163, v[vgprLocalReadAddrA] offset:4994 // L -> Reg lro=2304 swapByteOffset=0 ti=64 vIdx=0 rIdx=1 oIdx=0 buffer=3 iui=0
	;; [unrolled: 3-line block ×3, first 2 shown]
v_mfma_f32_16x16x16_bf16 v[8+0:11+0], v[vgprValuB_X2_I0+4+0+0:vgprValuB_X2_I0+4+0+0+1], v[vgprValuA_X2_I0+0+0+0:vgprValuA_X2_I0+0+0+0+1], v[8:11]
/*  mfmaIndex:28  */
/* localReadsVacancy: latencyLeft 2 */
v_mfma_f32_16x16x16_bf16 v[16+0:19+0], v[vgprValuB_X2_I0+8+0+0:vgprValuB_X2_I0+8+0+0+1], v[vgprValuA_X2_I0+0+0+0:vgprValuA_X2_I0+0+0+0+1], v[16:19]
/*  mfmaIndex:29  */
/* localReadsVacancy: latencyLeft 2 */
	;; [unrolled: 3-line block ×3, first 2 shown]
/* 1 LDS buffer: read-sync-write */
s_waitcnt lgkmcnt(0)                               // 
s_barrier                                          // 
v_mfma_f32_16x16x16_bf16 v[28+0:31+0], v[vgprValuB_X2_I0+12+0+0:vgprValuB_X2_I0+12+0+0+1], v[vgprValuA_X2_I0+2+0+0:vgprValuA_X2_I0+2+0+0+1], v[28:31]
/*  mfmaIndex:31  */
s_setprio 3                                        // store optimization
/* sched write - iter 2 writesPerItem=1 */
s_waitcnt vmcnt(0)                                 // lgkmcnt=-1 vmcnt=0wait for global read before writing to local
_ds_store_b128 v[vgprLocalWriteAddrA], v[vgprG2LA+0:vgprG2LA+0+3] offset:0 // lwoA_0_0_0_0 = (0*LSCA) + (0*LSPA)(*MT0I+PAD) = 0
_buffer_load_b128 v[vgprG2LA+0:vgprG2LA+0+3], v[vgprGlobalReadOffsetA+0], s[sgprSrdA:sgprSrdA+3], 0, offen offset:0 // G -> Reg 0_0_0_0
/* sched write - iter 2 writesPerItem=1 */
s_waitcnt vmcnt(0)                                 // lgkmcnt=-1 vmcnt=0wait for global read before writing to local
_ds_store_b128 v[vgprLocalWriteAddrA], v[vgprG2LA+4:vgprG2LA+4+3] offset:4352 // lwoA_0_0_1_0 = (0*LSCA) + (1*LSPA)(*MT0I+PAD) = 4352
_buffer_load_b128 v[vgprG2LA+4:vgprG2LA+4+3], v[vgprGlobalReadOffsetA+1], s[sgprSrdA:sgprSrdA+3], 0, offen offset:0 // G -> Reg 0_0_1_0
/* sched write - iter 2 writesPerItem=1 */
s_waitcnt vmcnt(0)                                 // lgkmcnt=-1 vmcnt=0wait for global read before writing to local
_ds_store_b128 v[vgprLocalWriteAddrB], v[vgprG2LB+0:vgprG2LB+0+3] offset:0 // lwoB_0_0_0_0 = (0*LSCB)*(MT1J+PAD) + (0*LSPB) = 0
_buffer_load_b128 v[vgprG2LB+0:vgprG2LB+0+3], v[vgprGlobalReadOffsetB+0], s[sgprSrdB:sgprSrdB+3], 0, offen offset:0 // G -> Reg 0_0_0_0
/* sched write - iter 2 writesPerItem=1 */
s_waitcnt vmcnt(0)                                 // lgkmcnt=-1 vmcnt=0wait for global read before writing to local
_ds_store_b128 v[vgprLocalWriteAddrB], v[vgprG2LB+4:vgprG2LB+4+3] offset:5120 // lwoB_0_0_1_0 = (0*LSCB)*(MT1J+PAD) + (1*LSPB) = 5120
v_mfma_f32_16x16x16_bf16 v[24+0:27+0], v[vgprValuB_X2_I0+12+0+0:vgprValuB_X2_I0+12+0+0+1], v[vgprValuA_X2_I0+0+0+0:vgprValuA_X2_I0+0+0+0+1], v[24:27]
/*  mfmaIndex:32  */
_buffer_load_b128 v[vgprG2LB+4:vgprG2LB+4+3], v[vgprGlobalReadOffsetB+1], s[sgprSrdB:sgprSrdB+3], 0, offen offset:0 // G -> Reg 0_0_1_0
/* sched write - iter 2 writesPerItem=1 */
s_waitcnt vmcnt(0)                                 // lgkmcnt=-1 vmcnt=0wait for global read before writing to local
_ds_store_b128 v[vgprLocalWriteAddrB], v[vgprG2LB+8:vgprG2LB+8+3] offset:10240 // lwoB_0_0_2_0 = (0*LSCB)*(MT1J+PAD) + (2*LSPB) = 10240
_buffer_load_b128 v[vgprG2LB+8:vgprG2LB+8+3], v[vgprGlobalReadOffsetB+2], s[sgprSrdB:sgprSrdB+3], 0, offen offset:0 // G -> Reg 0_0_2_0
/* sched write - iter 2 writesPerItem=1 */
s_waitcnt vmcnt(0)                                 // lgkmcnt=-1 vmcnt=0wait for global read before writing to local
_ds_store_b128 v[vgprLocalWriteAddrB], v[vgprG2LB+12:vgprG2LB+12+3] offset:15360 // lwoB_0_0_3_0 = (0*LSCB)*(MT1J+PAD) + (3*LSPB) = 15360
_buffer_load_b128 v[vgprG2LB+12:vgprG2LB+12+3], v[vgprGlobalReadOffsetB+3], s[sgprSrdB:sgprSrdB+3], 0, offen offset:0 // G -> Reg 0_0_3_0
/* sched write - iter 2 writesPerItem=1 */
s_waitcnt vmcnt(0)                                 // lgkmcnt=-1 vmcnt=0wait for global read before writing to local
_ds_store_b128 v[vgprLocalWriteAddrB], v[vgprG2LB+16:vgprG2LB+16+3] offset:20480 // lwoB_0_0_4_0 = (0*LSCB)*(MT1J+PAD) + (4*LSPB) = 20480
_buffer_load_b128 v[vgprG2LB+16:vgprG2LB+16+3], v[vgprGlobalReadOffsetB+4], s[sgprSrdB:sgprSrdB+3], 0, offen offset:0 // G -> Reg 0_0_4_0
v_mfma_f32_16x16x16_bf16 v[32+0:35+0], v[vgprValuB_X2_I0+16+0+0:vgprValuB_X2_I0+16+0+0+1], v[vgprValuA_X2_I0+0+0+0:vgprValuA_X2_I0+0+0+0+1], v[32:35]
/*  mfmaIndex:33  */
/* sched write - iter 2 writesPerItem=1 */
s_waitcnt vmcnt(0)                                 // lgkmcnt=-1 vmcnt=0wait for global read before writing to local
_ds_store_b128 v[vgprLocalWriteAddrB], v[vgprG2LB+20:vgprG2LB+20+3] offset:25600 // lwoB_0_0_5_0 = (0*LSCB)*(MT1J+PAD) + (5*LSPB) = 25600
_buffer_load_b128 v[vgprG2LB+20:vgprG2LB+20+3], v[vgprGlobalReadOffsetB+5], s[sgprSrdB:sgprSrdB+3], 0, offen offset:0 // G -> Reg 0_0_5_0

/* local write swap offsets a */

/* local write swap offsets b */
v_mfma_f32_16x16x16_bf16 v[36+0:39+0], v[vgprValuB_X2_I0+16+0+0:vgprValuB_X2_I0+16+0+0+1], v[vgprValuA_X2_I0+2+0+0:vgprValuA_X2_I0+2+0+0+1], v[36:39]
/*  mfmaIndex:34  */
v_mfma_f32_16x16x16_bf16 v[44+0:47+0], v[vgprValuB_X2_I0+20+0+0:vgprValuB_X2_I0+20+0+0+1], v[vgprValuA_X2_I0+2+0+0:vgprValuA_X2_I0+2+0+0+1], v[44:47]
/*  mfmaIndex:35  */

/* local read swap offsets a */

/* local read swap offsets b */

/* local read init pointers a */

/* localReadInitPointers */

/* local read init pointers b */

/* localReadInitPointers */
v_mfma_f32_16x16x16_bf16 v[40+0:43+0], v[vgprValuB_X2_I0+20+0+0:vgprValuB_X2_I0+20+0+0+1], v[vgprValuA_X2_I0+0+0+0:vgprValuA_X2_I0+0+0+0+1], v[40:43]
s_setprio 0                                        // store optimization
/* numPrefetchIter=0 */
/* dataAtIterA=1 numReadsIterA=3 skipReadsIterA=1 readsPerIterA=8 */
/* dataAtIterB=0 numReadsIterB=1 skipReadsIterB=0 readsPerIterB=6 */


/* iter 3 */

/*  grEndMfmaIndex:18, lwStartMfmaIndex:31, lwEndMfmaIndex:33  */
/*  numMfmaForLR:11, barrierMfmaIndex:36, LocalWritePerMfma:3.120 */
/*  mfmaIndex:36  */
s_waitcnt lgkmcnt(0)                               // lgkmcnt=0 vmcnt=-13wait for local write
// Skip force waitcnt0
s_barrier //
/* pack scheduling: packAIdx:2, packBIdx:0 */
v_or_b32 v[vgprValuA_X3_I0+0], v[vgprValuA_X3_I0+0], v161 // pack two half Vgpr to one Vgpr
v_or_b32 v[vgprValuA_X3_I0+1], v[vgprValuA_X3_I0+1], v162 // pack two half Vgpr to one Vgpr
	;; [unrolled: 1-line block ×4, first 2 shown]
v_mfma_f32_16x16x16_bf16 v[0+0:3+0], v[vgprValuB_X2_I0+0+2+0:vgprValuB_X2_I0+0+2+0+1], v[vgprValuA_X3_I0+0+0+0:vgprValuA_X3_I0+0+0+0+1], v[0:3]
/*  mfmaIndex:37  */
s_setprio 3                                        // store optimization
_ds_load_u16 v[vgprValuA_X0_I0+0], v[vgprLocalReadAddrA] offset:0 // L -> Reg lro=0 swapByteOffset=0 ti=64 vIdx=0 rIdx=0 oIdx=0 buffer=0 iui=0
_ds_load_u16_d16_hi v157, v[vgprLocalReadAddrA] offset:128 // L -> Reg lro=0 swapByteOffset=0 ti=64 vIdx=0 rIdx=1 oIdx=0 buffer=0 iui=0
v_mfma_f32_16x16x16_bf16 v[4+0:7+0], v[vgprValuB_X2_I0+0+2+0:vgprValuB_X2_I0+0+2+0+1], v[vgprValuA_X3_I0+2+0+0:vgprValuA_X3_I0+2+0+0+1], v[4:7]
/*  mfmaIndex:38  */
_ds_load_u16 v[vgprValuA_X0_I0+1], v[vgprLocalReadAddrA] offset:256 // L -> Reg lro=0 swapByteOffset=0 ti=64 vIdx=0 rIdx=2 oIdx=0 buffer=0 iui=0
_ds_load_u16_d16_hi v158, v[vgprLocalReadAddrA] offset:384 // L -> Reg lro=0 swapByteOffset=0 ti=64 vIdx=0 rIdx=3 oIdx=0 buffer=0 iui=0
v_mfma_f32_16x16x16_bf16 v[12+0:15+0], v[vgprValuB_X2_I0+4+2+0:vgprValuB_X2_I0+4+2+0+1], v[vgprValuA_X3_I0+2+0+0:vgprValuA_X3_I0+2+0+0+1], v[12:15]
/*  mfmaIndex:39  */
_ds_load_b128 v[vgprValuB_X0_I0+0:vgprValuB_X0_I0+0+3], v[vgprLocalReadAddrB] offset:0 // L -> Reg lro=0 swapByteOffset=0 ti=32 vIdx=0 rIdx=0 oIdx=0 buffer=0 iui=0
_ds_load_u16 v[vgprValuA_X0_I0+2], v[vgprLocalReadAddrA] offset:2 // L -> Reg lro=0 swapByteOffset=0 ti=64 vIdx=0 rIdx=0 oIdx=0 buffer=0 iui=0
v_mfma_f32_16x16x16_bf16 v[8+0:11+0], v[vgprValuB_X2_I0+4+2+0:vgprValuB_X2_I0+4+2+0+1], v[vgprValuA_X3_I0+0+0+0:vgprValuA_X3_I0+0+0+0+1], v[8:11]
/*  mfmaIndex:40  */
_ds_load_u16_d16_hi v159, v[vgprLocalReadAddrA] offset:130 // L -> Reg lro=0 swapByteOffset=0 ti=64 vIdx=0 rIdx=1 oIdx=0 buffer=0 iui=0
v_mfma_f32_16x16x16_bf16 v[16+0:19+0], v[vgprValuB_X2_I0+8+2+0:vgprValuB_X2_I0+8+2+0+1], v[vgprValuA_X3_I0+0+0+0:vgprValuA_X3_I0+0+0+0+1], v[16:19]
/*  mfmaIndex:41  */
_ds_load_u16 v[vgprValuA_X0_I0+3], v[vgprLocalReadAddrA] offset:258 // L -> Reg lro=0 swapByteOffset=0 ti=64 vIdx=0 rIdx=2 oIdx=0 buffer=0 iui=0
v_mfma_f32_16x16x16_bf16 v[20+0:23+0], v[vgprValuB_X2_I0+8+2+0:vgprValuB_X2_I0+8+2+0+1], v[vgprValuA_X3_I0+2+0+0:vgprValuA_X3_I0+2+0+0+1], v[20:23]
/*  mfmaIndex:42  */
_ds_load_u16_d16_hi v160, v[vgprLocalReadAddrA] offset:386 // L -> Reg lro=0 swapByteOffset=0 ti=64 vIdx=0 rIdx=3 oIdx=0 buffer=0 iui=0
v_mfma_f32_16x16x16_bf16 v[28+0:31+0], v[vgprValuB_X2_I0+12+2+0:vgprValuB_X2_I0+12+2+0+1], v[vgprValuA_X3_I0+2+0+0:vgprValuA_X3_I0+2+0+0+1], v[28:31]
/*  mfmaIndex:43  */
_ds_load_b128 v[vgprValuB_X0_I0+4:vgprValuB_X0_I0+4+3], v[vgprLocalReadAddrB] offset:5120 // L -> Reg lro=0 swapByteOffset=0 ti=32 vIdx=1 rIdx=0 oIdx=0 buffer=0 iui=0
v_mfma_f32_16x16x16_bf16 v[24+0:27+0], v[vgprValuB_X2_I0+12+2+0:vgprValuB_X2_I0+12+2+0+1], v[vgprValuA_X3_I0+0+0+0:vgprValuA_X3_I0+0+0+0+1], v[24:27]
/*  mfmaIndex:44  */
_ds_load_b128 v[vgprValuB_X0_I0+8:vgprValuB_X0_I0+8+3], v[vgprLocalReadAddrB] offset:10240 // L -> Reg lro=0 swapByteOffset=0 ti=32 vIdx=2 rIdx=0 oIdx=0 buffer=0 iui=0
	;; [unrolled: 3-line block ×5, first 2 shown]
v_mfma_f32_16x16x16_bf16 v[40+0:43+0], v[vgprValuB_X2_I0+20+2+0:vgprValuB_X2_I0+20+2+0+1], v[vgprValuA_X3_I0+0+0+0:vgprValuA_X3_I0+0+0+0+1], v[40:43]
s_setprio 0                                        // store optimization


/******************************************/
/* Unrolled Loop - End 2/2 (final)        */
/******************************************/


/* closeLoop loopL finalLoop=1 tailLoop=0 */
s_sub_u32 s[sgprLoopCounterL], s[sgprLoopCounterL], 1 // dec counterL
s_cmp_eq_i32 s[sgprLoopCounterL], 0x2              // counterL==2
s_cbranch_scc0 LoopBeginL_1                        // restart LoopL
LoopEndL_evenexit_4: // unroll loop eveniter exit
s_branch LoopEndL_2                                // exit unroll loopL (and skip second exit code)
LoopEndL_oddexit_3: // unroll loop odditer exit

/* Select high bank of LDS */
LoopEndL_2:


/* Before NLL: Check VGPR.checkin for INT8 LW */


/******************************************/
/* Ord. NoGlobalLoadLoop - Begin                                      */
/******************************************/


	;; [unrolled: 1-line block ×3, first 2 shown]
/* iter 0 */

/*  grEndMfmaIndex:18, lwStartMfmaIndex:31, lwEndMfmaIndex:33  */
/*  numMfmaForLR:11, barrierMfmaIndex:36, LocalWritePerMfma:3.120 */
/*  mfmaIndex:0  */
s_waitcnt lgkmcnt(0)                               // lgkmcnt=0 vmcnt=-1wait for prior local read local write old=0, new=0 newLW=0 newLR=0
/* pack scheduling: packAIdx:2, packBIdx:0 */
v_or_b32 v[vgprValuA_X0_I0+0], v[vgprValuA_X0_I0+0], v157 // pack two half Vgpr to one Vgpr
v_or_b32 v[vgprValuA_X0_I0+1], v[vgprValuA_X0_I0+1], v158 // pack two half Vgpr to one Vgpr
	;; [unrolled: 1-line block ×4, first 2 shown]
v_mfma_f32_16x16x16_bf16 v[0+0:3+0], v[vgprValuB_X0_I0+0+0+0:vgprValuB_X0_I0+0+0+0+1], v[vgprValuA_X0_I0+0+0+0:vgprValuA_X0_I0+0+0+0+1], v[0:3]
/*  mfmaIndex:1  */
_ds_load_u16 v[vgprValuA_X1_I0+0], v[vgprLocalReadAddrA] offset:512 // L -> Reg lro=256 swapByteOffset=0 ti=64 vIdx=0 rIdx=0 oIdx=0 buffer=1 iui=0
_ds_load_u16_d16_hi v161, v[vgprLocalReadAddrA] offset:640 // L -> Reg lro=256 swapByteOffset=0 ti=64 vIdx=0 rIdx=1 oIdx=0 buffer=1 iui=0

/* global read inc A loopL */
s_cmp_eq_u32 s[sgprLoopCounterL], s[sgprStaggerUIter] // Is this the wrapIter?
v_mfma_f32_16x16x16_bf16 v[4+0:7+0], v[vgprValuB_X0_I0+0+0+0:vgprValuB_X0_I0+0+0+0+1], v[vgprValuA_X0_I0+2+0+0:vgprValuA_X0_I0+2+0+0+1], v[4:7]
/*  mfmaIndex:2  */
_ds_load_u16 v[vgprValuA_X1_I0+1], v[vgprLocalReadAddrA] offset:768 // L -> Reg lro=256 swapByteOffset=0 ti=64 vIdx=0 rIdx=2 oIdx=0 buffer=1 iui=0
_ds_load_u16_d16_hi v162, v[vgprLocalReadAddrA] offset:896 // L -> Reg lro=256 swapByteOffset=0 ti=64 vIdx=0 rIdx=3 oIdx=0 buffer=1 iui=0
s_cselect_b32 s56, s[sgprWrapUA+0], s[sgprGlobalReadIncsA+0] // incLower <- ?
v_mfma_f32_16x16x16_bf16 v[12+0:15+0], v[vgprValuB_X0_I0+4+0+0:vgprValuB_X0_I0+4+0+0+1], v[vgprValuA_X0_I0+2+0+0:vgprValuA_X0_I0+2+0+0+1], v[12:15]
/*  mfmaIndex:3  */
_ds_load_b128 v[vgprValuB_X2_I0+0:vgprValuB_X2_I0+0+3], v[vgprLocalReadAddrB] offset:64 // L -> Reg lro=32 swapByteOffset=0 ti=32 vIdx=0 rIdx=0 oIdx=0 buffer=2 iui=0
_ds_load_u16 v[vgprValuA_X1_I0+2], v[vgprLocalReadAddrA] offset:514 // L -> Reg lro=256 swapByteOffset=0 ti=64 vIdx=0 rIdx=0 oIdx=0 buffer=1 iui=0
s_cselect_b32 s57, s[sgprWrapUA+1], 0              // incUpper <- ?
v_mfma_f32_16x16x16_bf16 v[8+0:11+0], v[vgprValuB_X0_I0+4+0+0:vgprValuB_X0_I0+4+0+0+1], v[vgprValuA_X0_I0+0+0+0:vgprValuA_X0_I0+0+0+0+1], v[8:11]
/*  mfmaIndex:4  */
_ds_load_u16_d16_hi v163, v[vgprLocalReadAddrA] offset:642 // L -> Reg lro=256 swapByteOffset=0 ti=64 vIdx=0 rIdx=1 oIdx=0 buffer=1 iui=0
s_add_u32 s[sgprSrdA+0], s[sgprSrdA+0], s56        // gra SRD += inc(lower)
v_mfma_f32_16x16x16_bf16 v[16+0:19+0], v[vgprValuB_X0_I0+8+0+0:vgprValuB_X0_I0+8+0+0+1], v[vgprValuA_X0_I0+0+0+0:vgprValuA_X0_I0+0+0+0+1], v[16:19]
/*  mfmaIndex:5  */
_ds_load_u16 v[vgprValuA_X1_I0+3], v[vgprLocalReadAddrA] offset:770 // L -> Reg lro=256 swapByteOffset=0 ti=64 vIdx=0 rIdx=2 oIdx=0 buffer=1 iui=0
s_addc_u32  s[sgprSrdA+1], s[sgprSrdA+1], s57      // gra SRD += inc(upper)
v_mfma_f32_16x16x16_bf16 v[20+0:23+0], v[vgprValuB_X0_I0+8+0+0:vgprValuB_X0_I0+8+0+0+1], v[vgprValuA_X0_I0+2+0+0:vgprValuA_X0_I0+2+0+0+1], v[20:23]
/*  mfmaIndex:6  */
_ds_load_u16_d16_hi v164, v[vgprLocalReadAddrA] offset:898 // L -> Reg lro=256 swapByteOffset=0 ti=64 vIdx=0 rIdx=3 oIdx=0 buffer=1 iui=0
s_sub_u32 s[sgprShadowLimitA+0], s[sgprShadowLimitA+0], s56 // limit -= inc)
v_mfma_f32_16x16x16_bf16 v[28+0:31+0], v[vgprValuB_X0_I0+12+0+0:vgprValuB_X0_I0+12+0+0+1], v[vgprValuA_X0_I0+2+0+0:vgprValuA_X0_I0+2+0+0+1], v[28:31]
/*  mfmaIndex:7  */
_ds_load_b128 v[vgprValuB_X2_I0+4:vgprValuB_X2_I0+4+3], v[vgprLocalReadAddrB] offset:5184 // L -> Reg lro=32 swapByteOffset=0 ti=32 vIdx=1 rIdx=0 oIdx=0 buffer=2 iui=0
s_subb_u32 s[sgprShadowLimitA+1], s[sgprShadowLimitA+1], s57 // limit -= inc)
v_mfma_f32_16x16x16_bf16 v[24+0:27+0], v[vgprValuB_X0_I0+12+0+0:vgprValuB_X0_I0+12+0+0+1], v[vgprValuA_X0_I0+0+0+0:vgprValuA_X0_I0+0+0+0+1], v[24:27]
/*  mfmaIndex:8  */
_ds_load_b128 v[vgprValuB_X2_I0+8:vgprValuB_X2_I0+8+3], v[vgprLocalReadAddrB] offset:10304 // L -> Reg lro=32 swapByteOffset=0 ti=32 vIdx=2 rIdx=0 oIdx=0 buffer=2 iui=0
s_cmp_eq_u32 s[sgprShadowLimitA+1], 0              // are we within 2^32?
v_mfma_f32_16x16x16_bf16 v[32+0:35+0], v[vgprValuB_X0_I0+16+0+0:vgprValuB_X0_I0+16+0+0+1], v[vgprValuA_X0_I0+0+0+0:vgprValuA_X0_I0+0+0+0+1], v[32:35]
/*  mfmaIndex:9  */
_ds_load_b128 v[vgprValuB_X2_I0+12:vgprValuB_X2_I0+12+3], v[vgprLocalReadAddrB] offset:15424 // L -> Reg lro=32 swapByteOffset=0 ti=32 vIdx=3 rIdx=0 oIdx=0 buffer=2 iui=0
s_cselect_b32 s[sgprSrdA+2], s[sgprShadowLimitA+0], BufferLimitA // Move shadow to real if we are within 2^32
v_mfma_f32_16x16x16_bf16 v[36+0:39+0], v[vgprValuB_X0_I0+16+0+0:vgprValuB_X0_I0+16+0+0+1], v[vgprValuA_X0_I0+2+0+0:vgprValuA_X0_I0+2+0+0+1], v[36:39]
/*  mfmaIndex:10  */
_ds_load_b128 v[vgprValuB_X2_I0+16:vgprValuB_X2_I0+16+3], v[vgprLocalReadAddrB] offset:20544 // L -> Reg lro=32 swapByteOffset=0 ti=32 vIdx=4 rIdx=0 oIdx=0 buffer=2 iui=0

/* global read inc B loopL */
s_cmp_eq_u32 s[sgprLoopCounterL], s[sgprStaggerUIter] // Is this the wrapIter?
v_mfma_f32_16x16x16_bf16 v[44+0:47+0], v[vgprValuB_X0_I0+20+0+0:vgprValuB_X0_I0+20+0+0+1], v[vgprValuA_X0_I0+2+0+0:vgprValuA_X0_I0+2+0+0+1], v[44:47]
/*  mfmaIndex:11  */
_ds_load_b128 v[vgprValuB_X2_I0+20:vgprValuB_X2_I0+20+3], v[vgprLocalReadAddrB] offset:25664 // L -> Reg lro=32 swapByteOffset=0 ti=32 vIdx=5 rIdx=0 oIdx=0 buffer=2 iui=0
s_cselect_b32 s56, s[sgprWrapUB+0], s[sgprGlobalReadIncsB+0] // incLower <- ?
v_mfma_f32_16x16x16_bf16 v[40+0:43+0], v[vgprValuB_X0_I0+20+0+0:vgprValuB_X0_I0+20+0+0+1], v[vgprValuA_X0_I0+0+0+0:vgprValuA_X0_I0+0+0+0+1], v[40:43]
/* numPrefetchIter=0 */
/* dataAtIterA=-1 numReadsIterA=1 skipReadsIterA=1 readsPerIterA=8 */
/* dataAtIterB=-1 numReadsIterB=1 skipReadsIterB=1 readsPerIterB=6 */


/* iter 1 */

/*  grEndMfmaIndex:18, lwStartMfmaIndex:31, lwEndMfmaIndex:33  */
/*  numMfmaForLR:11, barrierMfmaIndex:36, LocalWritePerMfma:3.120 */
/*  mfmaIndex:12  */
_ds_load_u16 v[vgprValuA_X2_I0+0], v[vgprLocalReadAddrA] offset:4352 // L -> Reg lro=2048 swapByteOffset=0 ti=64 vIdx=0 rIdx=0 oIdx=0 buffer=2 iui=0
s_cselect_b32 s57, s[sgprWrapUB+1], 0              // incUpper <- ?
s_waitcnt lgkmcnt(1)                               // lgkmcnt=0 vmcnt=-1wait for prior local read local write old=0, new=1 newLW=0 newLR=1
/* pack scheduling: packAIdx:2, packBIdx:0 */
v_or_b32 v[vgprValuA_X1_I0+0], v[vgprValuA_X1_I0+0], v161 // pack two half Vgpr to one Vgpr
v_or_b32 v[vgprValuA_X1_I0+1], v[vgprValuA_X1_I0+1], v162 // pack two half Vgpr to one Vgpr
	;; [unrolled: 1-line block ×4, first 2 shown]
v_mfma_f32_16x16x16_bf16 v[0+0:3+0], v[vgprValuB_X0_I0+0+2+0:vgprValuB_X0_I0+0+2+0+1], v[vgprValuA_X1_I0+0+0+0:vgprValuA_X1_I0+0+0+0+1], v[0:3]
/*  mfmaIndex:13  */
_ds_load_u16_d16_hi v157, v[vgprLocalReadAddrA] offset:4480 // L -> Reg lro=2048 swapByteOffset=0 ti=64 vIdx=0 rIdx=1 oIdx=0 buffer=2 iui=0
s_add_u32 s[sgprSrdB+0], s[sgprSrdB+0], s56        // gra SRD += inc(lower)
v_mfma_f32_16x16x16_bf16 v[4+0:7+0], v[vgprValuB_X0_I0+0+2+0:vgprValuB_X0_I0+0+2+0+1], v[vgprValuA_X1_I0+2+0+0:vgprValuA_X1_I0+2+0+0+1], v[4:7]
/*  mfmaIndex:14  */
_ds_load_u16 v[vgprValuA_X2_I0+1], v[vgprLocalReadAddrA] offset:4608 // L -> Reg lro=2048 swapByteOffset=0 ti=64 vIdx=0 rIdx=2 oIdx=0 buffer=2 iui=0
s_addc_u32  s[sgprSrdB+1], s[sgprSrdB+1], s57      // gra SRD += inc(upper)
v_mfma_f32_16x16x16_bf16 v[12+0:15+0], v[vgprValuB_X0_I0+4+2+0:vgprValuB_X0_I0+4+2+0+1], v[vgprValuA_X1_I0+2+0+0:vgprValuA_X1_I0+2+0+0+1], v[12:15]
/*  mfmaIndex:15  */
_ds_load_u16_d16_hi v158, v[vgprLocalReadAddrA] offset:4736 // L -> Reg lro=2048 swapByteOffset=0 ti=64 vIdx=0 rIdx=3 oIdx=0 buffer=2 iui=0
s_sub_u32 s[sgprShadowLimitB+0], s[sgprShadowLimitB+0], s56 // limit -= inc)
v_mfma_f32_16x16x16_bf16 v[8+0:11+0], v[vgprValuB_X0_I0+4+2+0:vgprValuB_X0_I0+4+2+0+1], v[vgprValuA_X1_I0+0+0+0:vgprValuA_X1_I0+0+0+0+1], v[8:11]
/*  mfmaIndex:16  */
_ds_load_u16 v[vgprValuA_X2_I0+2], v[vgprLocalReadAddrA] offset:4354 // L -> Reg lro=2048 swapByteOffset=0 ti=64 vIdx=0 rIdx=0 oIdx=0 buffer=2 iui=0
s_subb_u32 s[sgprShadowLimitB+1], s[sgprShadowLimitB+1], s57 // limit -= inc)
v_mfma_f32_16x16x16_bf16 v[16+0:19+0], v[vgprValuB_X0_I0+8+2+0:vgprValuB_X0_I0+8+2+0+1], v[vgprValuA_X1_I0+0+0+0:vgprValuA_X1_I0+0+0+0+1], v[16:19]
/*  mfmaIndex:17  */
_ds_load_u16_d16_hi v159, v[vgprLocalReadAddrA] offset:4482 // L -> Reg lro=2048 swapByteOffset=0 ti=64 vIdx=0 rIdx=1 oIdx=0 buffer=2 iui=0
s_cmp_eq_u32 s[sgprShadowLimitB+1], 0              // are we within 2^32?
v_mfma_f32_16x16x16_bf16 v[20+0:23+0], v[vgprValuB_X0_I0+8+2+0:vgprValuB_X0_I0+8+2+0+1], v[vgprValuA_X1_I0+2+0+0:vgprValuA_X1_I0+2+0+0+1], v[20:23]
/*  mfmaIndex:18  */
_ds_load_u16 v[vgprValuA_X2_I0+3], v[vgprLocalReadAddrA] offset:4610 // L -> Reg lro=2048 swapByteOffset=0 ti=64 vIdx=0 rIdx=2 oIdx=0 buffer=2 iui=0
s_cselect_b32 s[sgprSrdB+2], s[sgprShadowLimitB+0], BufferLimitB // Move shadow to real if we are within 2^32
v_mfma_f32_16x16x16_bf16 v[28+0:31+0], v[vgprValuB_X0_I0+12+2+0:vgprValuB_X0_I0+12+2+0+1], v[vgprValuA_X1_I0+2+0+0:vgprValuA_X1_I0+2+0+0+1], v[28:31]
/*  mfmaIndex:19  */
_ds_load_u16_d16_hi v160, v[vgprLocalReadAddrA] offset:4738 // L -> Reg lro=2048 swapByteOffset=0 ti=64 vIdx=0 rIdx=3 oIdx=0 buffer=2 iui=0
v_mfma_f32_16x16x16_bf16 v[24+0:27+0], v[vgprValuB_X0_I0+12+2+0:vgprValuB_X0_I0+12+2+0+1], v[vgprValuA_X1_I0+0+0+0:vgprValuA_X1_I0+0+0+0+1], v[24:27]
/*  mfmaIndex:20  */
/* localReadsVacancy: latencyLeft 2 */
_ds_load_u16 v[vgprValuA_X3_I0+0], v[vgprLocalReadAddrA] offset:4864 // L -> Reg lro=2304 swapByteOffset=0 ti=64 vIdx=0 rIdx=0 oIdx=0 buffer=3 iui=0
v_mfma_f32_16x16x16_bf16 v[32+0:35+0], v[vgprValuB_X0_I0+16+2+0:vgprValuB_X0_I0+16+2+0+1], v[vgprValuA_X1_I0+0+0+0:vgprValuA_X1_I0+0+0+0+1], v[32:35]
/*  mfmaIndex:21  */
/* localReadsVacancy: latencyLeft 2 */
_ds_load_u16 v[vgprValuA_X3_I0+1], v[vgprLocalReadAddrA] offset:5120 // L -> Reg lro=2304 swapByteOffset=0 ti=64 vIdx=0 rIdx=2 oIdx=0 buffer=3 iui=0
	;; [unrolled: 4-line block ×4, first 2 shown]
v_mfma_f32_16x16x16_bf16 v[40+0:43+0], v[vgprValuB_X0_I0+20+2+0:vgprValuB_X0_I0+20+2+0+1], v[vgprValuA_X1_I0+0+0+0:vgprValuA_X1_I0+0+0+0+1], v[40:43]
/* numPrefetchIter=0 */
/* dataAtIterA=0 numReadsIterA=2 skipReadsIterA=1 readsPerIterA=8 */
/* dataAtIterB=-1 numReadsIterB=1 skipReadsIterB=0 readsPerIterB=6 */


/* iter 2 (reset local read pointers iteration)  (swap and reset local write pointers iteration)  (swap local read pointers iteration)  */

/*  grEndMfmaIndex:18, lwStartMfmaIndex:31, lwEndMfmaIndex:33  */
/*  numMfmaForLR:11, barrierMfmaIndex:36, LocalWritePerMfma:3.120 */
/*  mfmaIndex:24  */
_ds_load_u16_d16_hi v161, v[vgprLocalReadAddrA] offset:4992 // L -> Reg lro=2304 swapByteOffset=0 ti=64 vIdx=0 rIdx=1 oIdx=0 buffer=3 iui=0
s_waitcnt lgkmcnt(5)                               // lgkmcnt=0 vmcnt=-1wait for prior local read local write old=4, new=5 newLW=0 newLR=1
/* pack scheduling: packAIdx:2, packBIdx:0 */
v_or_b32 v[vgprValuA_X2_I0+0], v[vgprValuA_X2_I0+0], v157 // pack two half Vgpr to one Vgpr
v_or_b32 v[vgprValuA_X2_I0+1], v[vgprValuA_X2_I0+1], v158 // pack two half Vgpr to one Vgpr
	;; [unrolled: 1-line block ×4, first 2 shown]
v_mfma_f32_16x16x16_bf16 v[0+0:3+0], v[vgprValuB_X2_I0+0+0+0:vgprValuB_X2_I0+0+0+0+1], v[vgprValuA_X2_I0+0+0+0:vgprValuA_X2_I0+0+0+0+1], v[0:3]
/*  mfmaIndex:25  */
_ds_load_u16_d16_hi v162, v[vgprLocalReadAddrA] offset:5248 // L -> Reg lro=2304 swapByteOffset=0 ti=64 vIdx=0 rIdx=3 oIdx=0 buffer=3 iui=0
v_mfma_f32_16x16x16_bf16 v[4+0:7+0], v[vgprValuB_X2_I0+0+0+0:vgprValuB_X2_I0+0+0+0+1], v[vgprValuA_X2_I0+2+0+0:vgprValuA_X2_I0+2+0+0+1], v[4:7]
/*  mfmaIndex:26  */
_ds_load_u16_d16_hi v163, v[vgprLocalReadAddrA] offset:4994 // L -> Reg lro=2304 swapByteOffset=0 ti=64 vIdx=0 rIdx=1 oIdx=0 buffer=3 iui=0
v_mfma_f32_16x16x16_bf16 v[12+0:15+0], v[vgprValuB_X2_I0+4+0+0:vgprValuB_X2_I0+4+0+0+1], v[vgprValuA_X2_I0+2+0+0:vgprValuA_X2_I0+2+0+0+1], v[12:15]
/*  mfmaIndex:27  */
_ds_load_u16_d16_hi v164, v[vgprLocalReadAddrA] offset:5250 // L -> Reg lro=2304 swapByteOffset=0 ti=64 vIdx=0 rIdx=3 oIdx=0 buffer=3 iui=0
v_mfma_f32_16x16x16_bf16 v[8+0:11+0], v[vgprValuB_X2_I0+4+0+0:vgprValuB_X2_I0+4+0+0+1], v[vgprValuA_X2_I0+0+0+0:vgprValuA_X2_I0+0+0+0+1], v[8:11]
/*  mfmaIndex:28  */
/* localReadsVacancy: latencyLeft 2 */
v_mfma_f32_16x16x16_bf16 v[16+0:19+0], v[vgprValuB_X2_I0+8+0+0:vgprValuB_X2_I0+8+0+0+1], v[vgprValuA_X2_I0+0+0+0:vgprValuA_X2_I0+0+0+0+1], v[16:19]
/*  mfmaIndex:29  */
/* localReadsVacancy: latencyLeft 2 */
v_mfma_f32_16x16x16_bf16 v[20+0:23+0], v[vgprValuB_X2_I0+8+0+0:vgprValuB_X2_I0+8+0+0+1], v[vgprValuA_X2_I0+2+0+0:vgprValuA_X2_I0+2+0+0+1], v[20:23]
/*  mfmaIndex:30  */
/* localReadsVacancy: latencyLeft 2 */
/* 1 LDS buffer: read-sync-write */
s_waitcnt lgkmcnt(0)                               // 
s_barrier                                          // 
v_mfma_f32_16x16x16_bf16 v[28+0:31+0], v[vgprValuB_X2_I0+12+0+0:vgprValuB_X2_I0+12+0+0+1], v[vgprValuA_X2_I0+2+0+0:vgprValuA_X2_I0+2+0+0+1], v[28:31]
/*  mfmaIndex:31  */
s_setprio 3                                        // store optimization
/* sched write - iter 2 writesPerItem=1 */
s_waitcnt vmcnt(0)                                 // lgkmcnt=-1 vmcnt=0wait for global read before writing to local
_ds_store_b128 v[vgprLocalWriteAddrA], v[vgprG2LA+0:vgprG2LA+0+3] offset:0 // lwoA_0_0_0_0 = (0*LSCA) + (0*LSPA)(*MT0I+PAD) = 0
/* sched write - iter 2 writesPerItem=1 */
s_waitcnt vmcnt(0)                                 // lgkmcnt=-1 vmcnt=0wait for global read before writing to local
_ds_store_b128 v[vgprLocalWriteAddrA], v[vgprG2LA+4:vgprG2LA+4+3] offset:4352 // lwoA_0_0_1_0 = (0*LSCA) + (1*LSPA)(*MT0I+PAD) = 4352
/* sched write - iter 2 writesPerItem=1 */
s_waitcnt vmcnt(0)                                 // lgkmcnt=-1 vmcnt=0wait for global read before writing to local
_ds_store_b128 v[vgprLocalWriteAddrB], v[vgprG2LB+0:vgprG2LB+0+3] offset:0 // lwoB_0_0_0_0 = (0*LSCB)*(MT1J+PAD) + (0*LSPB) = 0
/* sched write - iter 2 writesPerItem=1 */
s_waitcnt vmcnt(0)                                 // lgkmcnt=-1 vmcnt=0wait for global read before writing to local
_ds_store_b128 v[vgprLocalWriteAddrB], v[vgprG2LB+4:vgprG2LB+4+3] offset:5120 // lwoB_0_0_1_0 = (0*LSCB)*(MT1J+PAD) + (1*LSPB) = 5120
v_mfma_f32_16x16x16_bf16 v[24+0:27+0], v[vgprValuB_X2_I0+12+0+0:vgprValuB_X2_I0+12+0+0+1], v[vgprValuA_X2_I0+0+0+0:vgprValuA_X2_I0+0+0+0+1], v[24:27]
/*  mfmaIndex:32  */
/* sched write - iter 2 writesPerItem=1 */
s_waitcnt vmcnt(0)                                 // lgkmcnt=-1 vmcnt=0wait for global read before writing to local
_ds_store_b128 v[vgprLocalWriteAddrB], v[vgprG2LB+8:vgprG2LB+8+3] offset:10240 // lwoB_0_0_2_0 = (0*LSCB)*(MT1J+PAD) + (2*LSPB) = 10240
/* sched write - iter 2 writesPerItem=1 */
s_waitcnt vmcnt(0)                                 // lgkmcnt=-1 vmcnt=0wait for global read before writing to local
_ds_store_b128 v[vgprLocalWriteAddrB], v[vgprG2LB+12:vgprG2LB+12+3] offset:15360 // lwoB_0_0_3_0 = (0*LSCB)*(MT1J+PAD) + (3*LSPB) = 15360
/* sched write - iter 2 writesPerItem=1 */
s_waitcnt vmcnt(0)                                 // lgkmcnt=-1 vmcnt=0wait for global read before writing to local
_ds_store_b128 v[vgprLocalWriteAddrB], v[vgprG2LB+16:vgprG2LB+16+3] offset:20480 // lwoB_0_0_4_0 = (0*LSCB)*(MT1J+PAD) + (4*LSPB) = 20480
v_mfma_f32_16x16x16_bf16 v[32+0:35+0], v[vgprValuB_X2_I0+16+0+0:vgprValuB_X2_I0+16+0+0+1], v[vgprValuA_X2_I0+0+0+0:vgprValuA_X2_I0+0+0+0+1], v[32:35]
/*  mfmaIndex:33  */
/* sched write - iter 2 writesPerItem=1 */
s_waitcnt vmcnt(0)                                 // lgkmcnt=-1 vmcnt=0wait for global read before writing to local
_ds_store_b128 v[vgprLocalWriteAddrB], v[vgprG2LB+20:vgprG2LB+20+3] offset:25600 // lwoB_0_0_5_0 = (0*LSCB)*(MT1J+PAD) + (5*LSPB) = 25600

/* local write swap offsets a */

/* local write swap offsets b */
v_mfma_f32_16x16x16_bf16 v[36+0:39+0], v[vgprValuB_X2_I0+16+0+0:vgprValuB_X2_I0+16+0+0+1], v[vgprValuA_X2_I0+2+0+0:vgprValuA_X2_I0+2+0+0+1], v[36:39]
/*  mfmaIndex:34  */
v_mfma_f32_16x16x16_bf16 v[44+0:47+0], v[vgprValuB_X2_I0+20+0+0:vgprValuB_X2_I0+20+0+0+1], v[vgprValuA_X2_I0+2+0+0:vgprValuA_X2_I0+2+0+0+1], v[44:47]
/*  mfmaIndex:35  */

/* local read swap offsets a */

/* local read swap offsets b */

/* local read init pointers a */

/* localReadInitPointers */

/* local read init pointers b */

/* localReadInitPointers */
v_mfma_f32_16x16x16_bf16 v[40+0:43+0], v[vgprValuB_X2_I0+20+0+0:vgprValuB_X2_I0+20+0+0+1], v[vgprValuA_X2_I0+0+0+0:vgprValuA_X2_I0+0+0+0+1], v[40:43]
s_setprio 0                                        // store optimization
/* numPrefetchIter=0 */
/* dataAtIterA=1 numReadsIterA=3 skipReadsIterA=1 readsPerIterA=8 */
/* dataAtIterB=0 numReadsIterB=1 skipReadsIterB=0 readsPerIterB=6 */


/* iter 3 */

/*  grEndMfmaIndex:18, lwStartMfmaIndex:31, lwEndMfmaIndex:33  */
/*  numMfmaForLR:11, barrierMfmaIndex:36, LocalWritePerMfma:3.120 */
/*  mfmaIndex:36  */
s_waitcnt lgkmcnt(0)                               // lgkmcnt=0 vmcnt=-13wait for local write
// Skip force waitcnt0
s_barrier //
/* pack scheduling: packAIdx:2, packBIdx:0 */
v_or_b32 v[vgprValuA_X3_I0+0], v[vgprValuA_X3_I0+0], v161 // pack two half Vgpr to one Vgpr
v_or_b32 v[vgprValuA_X3_I0+1], v[vgprValuA_X3_I0+1], v162 // pack two half Vgpr to one Vgpr
	;; [unrolled: 1-line block ×4, first 2 shown]
v_mfma_f32_16x16x16_bf16 v[0+0:3+0], v[vgprValuB_X2_I0+0+2+0:vgprValuB_X2_I0+0+2+0+1], v[vgprValuA_X3_I0+0+0+0:vgprValuA_X3_I0+0+0+0+1], v[0:3]
/*  mfmaIndex:37  */
s_setprio 3                                        // store optimization
_ds_load_u16 v[vgprValuA_X0_I0+0], v[vgprLocalReadAddrA] offset:0 // L -> Reg lro=0 swapByteOffset=0 ti=64 vIdx=0 rIdx=0 oIdx=0 buffer=0 iui=0
_ds_load_u16_d16_hi v157, v[vgprLocalReadAddrA] offset:128 // L -> Reg lro=0 swapByteOffset=0 ti=64 vIdx=0 rIdx=1 oIdx=0 buffer=0 iui=0
v_mfma_f32_16x16x16_bf16 v[4+0:7+0], v[vgprValuB_X2_I0+0+2+0:vgprValuB_X2_I0+0+2+0+1], v[vgprValuA_X3_I0+2+0+0:vgprValuA_X3_I0+2+0+0+1], v[4:7]
/*  mfmaIndex:38  */
_ds_load_u16 v[vgprValuA_X0_I0+1], v[vgprLocalReadAddrA] offset:256 // L -> Reg lro=0 swapByteOffset=0 ti=64 vIdx=0 rIdx=2 oIdx=0 buffer=0 iui=0
_ds_load_u16_d16_hi v158, v[vgprLocalReadAddrA] offset:384 // L -> Reg lro=0 swapByteOffset=0 ti=64 vIdx=0 rIdx=3 oIdx=0 buffer=0 iui=0
v_mfma_f32_16x16x16_bf16 v[12+0:15+0], v[vgprValuB_X2_I0+4+2+0:vgprValuB_X2_I0+4+2+0+1], v[vgprValuA_X3_I0+2+0+0:vgprValuA_X3_I0+2+0+0+1], v[12:15]
/*  mfmaIndex:39  */
_ds_load_b128 v[vgprValuB_X0_I0+0:vgprValuB_X0_I0+0+3], v[vgprLocalReadAddrB] offset:0 // L -> Reg lro=0 swapByteOffset=0 ti=32 vIdx=0 rIdx=0 oIdx=0 buffer=0 iui=0
_ds_load_u16 v[vgprValuA_X0_I0+2], v[vgprLocalReadAddrA] offset:2 // L -> Reg lro=0 swapByteOffset=0 ti=64 vIdx=0 rIdx=0 oIdx=0 buffer=0 iui=0
v_mfma_f32_16x16x16_bf16 v[8+0:11+0], v[vgprValuB_X2_I0+4+2+0:vgprValuB_X2_I0+4+2+0+1], v[vgprValuA_X3_I0+0+0+0:vgprValuA_X3_I0+0+0+0+1], v[8:11]
/*  mfmaIndex:40  */
_ds_load_u16_d16_hi v159, v[vgprLocalReadAddrA] offset:130 // L -> Reg lro=0 swapByteOffset=0 ti=64 vIdx=0 rIdx=1 oIdx=0 buffer=0 iui=0
v_mfma_f32_16x16x16_bf16 v[16+0:19+0], v[vgprValuB_X2_I0+8+2+0:vgprValuB_X2_I0+8+2+0+1], v[vgprValuA_X3_I0+0+0+0:vgprValuA_X3_I0+0+0+0+1], v[16:19]
/*  mfmaIndex:41  */
_ds_load_u16 v[vgprValuA_X0_I0+3], v[vgprLocalReadAddrA] offset:258 // L -> Reg lro=0 swapByteOffset=0 ti=64 vIdx=0 rIdx=2 oIdx=0 buffer=0 iui=0
v_mfma_f32_16x16x16_bf16 v[20+0:23+0], v[vgprValuB_X2_I0+8+2+0:vgprValuB_X2_I0+8+2+0+1], v[vgprValuA_X3_I0+2+0+0:vgprValuA_X3_I0+2+0+0+1], v[20:23]
/*  mfmaIndex:42  */
_ds_load_u16_d16_hi v160, v[vgprLocalReadAddrA] offset:386 // L -> Reg lro=0 swapByteOffset=0 ti=64 vIdx=0 rIdx=3 oIdx=0 buffer=0 iui=0
v_mfma_f32_16x16x16_bf16 v[28+0:31+0], v[vgprValuB_X2_I0+12+2+0:vgprValuB_X2_I0+12+2+0+1], v[vgprValuA_X3_I0+2+0+0:vgprValuA_X3_I0+2+0+0+1], v[28:31]
/*  mfmaIndex:43  */
_ds_load_b128 v[vgprValuB_X0_I0+4:vgprValuB_X0_I0+4+3], v[vgprLocalReadAddrB] offset:5120 // L -> Reg lro=0 swapByteOffset=0 ti=32 vIdx=1 rIdx=0 oIdx=0 buffer=0 iui=0
v_mfma_f32_16x16x16_bf16 v[24+0:27+0], v[vgprValuB_X2_I0+12+2+0:vgprValuB_X2_I0+12+2+0+1], v[vgprValuA_X3_I0+0+0+0:vgprValuA_X3_I0+0+0+0+1], v[24:27]
/*  mfmaIndex:44  */
_ds_load_b128 v[vgprValuB_X0_I0+8:vgprValuB_X0_I0+8+3], v[vgprLocalReadAddrB] offset:10240 // L -> Reg lro=0 swapByteOffset=0 ti=32 vIdx=2 rIdx=0 oIdx=0 buffer=0 iui=0
	;; [unrolled: 3-line block ×5, first 2 shown]
v_mfma_f32_16x16x16_bf16 v[40+0:43+0], v[vgprValuB_X2_I0+20+2+0:vgprValuB_X2_I0+20+2+0+1], v[vgprValuA_X3_I0+0+0+0:vgprValuA_X3_I0+0+0+0+1], v[40:43]
s_setprio 0                                        // store optimization

label_0014:


/******************************************/
/* Opt. NoLoadLoop Without PAP - Begin                                      */
/******************************************/

s_cmpk_eq_u32 s[sgprBeta], 0x0                     // Beta == 0
s_cbranch_scc0 OptNLL_End_17                       // Branch if Beta is not zero

s_cmp_eq_u32 s[sgprAlpha], 1.0                     // Alpha == 1.0 ?
s_cbranch_scc0 OptNLL_End_17                       // branch if alpha != 1

s_and_b32 s56, 63, s[sgprSizeI]                    // s56 = s[sgprSizeI] % 64
s_add_u32 s57, -0x1, s[sgprNumWorkGroups0]         // 
s_cmp_ge_u32 s[sgprWorkGroup0], s57                // wg0 >= nwg0-1 ?
s_cselect_b32 s56, s56, 0                          // set rMT0
s_cmpk_gt_u32 s56, 0x0                             // rMT0 > 0
s_cbranch_scc1 OptNLL_End_17                       // jump if edges required
s_mov_b32 s59, 0x0                                 // STATIC_DIV: divisior=192
s_mul_i32 s58, 0x2aa, s[sgprSizeJ]                 // tmp1 = dividend * magic hi
s_lshl_b64 s[58:59], s[58:59], 0x10                // left shift 16 bits
s_mul_i32 s57, s[sgprSizeJ], 0xaaab                // tmp0 = dividend * magic lo
s_add_u32 s58, s57, s58                            // add lo
s_addc_u32 s59, s59, 0x0                           // add hi
s_lshr_b64 s[58:59], s[58:59], 0x21                // tmp1 = (dividend * magic) << shift
s_mov_b32 s57, s58                                 // quotient
s_mul_i32 s58, s57, 0xc0                           // quotient*divisor
s_sub_u32 s56, s[sgprSizeJ], s58                   // rReg = dividend - quotient*divisor
s_add_u32 s57, -0x1, s[sgprNumWorkGroups1]         // 
s_cmp_ge_u32 s[sgprWorkGroup1], s57                // wg1 >= nwg1-1
s_cselect_b32 s56, s56, 0                          // set rMT1
s_cmpk_gt_u32 s56, 0x0                             // rMT1 > 0
s_cbranch_scc1 OptNLL_End_17                       // jump if edges required

s_and_b32 s57, 63, s[sgprSizesSum+0]               // s57 = s[sgprSizesSum+0] % 64
s_cmp_eq_u32 s57, 0x0                              // numIterL == 0
s_cbranch_scc0 OptNLL_End_17                       // skip if tail loop required


	;; [unrolled: 1-line block ×3, first 2 shown]
/* iter 0 (last unrolled loop) */

/*  grEndMfmaIndex:0, lwStartMfmaIndex:33, lwEndMfmaIndex:33  */
/*  numMfmaForLR:11, barrierMfmaIndex:36, LocalWritePerMfma:3.120 */
/*  mfmaIndex:0  */
s_waitcnt lgkmcnt(0)                               // lgkmcnt=0 vmcnt=-1wait for prior local read local write old=0, new=0 newLW=0 newLR=0
/* pack scheduling: packAIdx:2, packBIdx:0 */
v_or_b32 v[vgprValuA_X0_I0+0], v[vgprValuA_X0_I0+0], v157 // pack two half Vgpr to one Vgpr
v_or_b32 v[vgprValuA_X0_I0+1], v[vgprValuA_X0_I0+1], v158 // pack two half Vgpr to one Vgpr
	;; [unrolled: 1-line block ×4, first 2 shown]
v_mfma_f32_16x16x16_bf16 v[0+0:3+0], v[vgprValuB_X0_I0+0+0+0:vgprValuB_X0_I0+0+0+0+1], v[vgprValuA_X0_I0+0+0+0:vgprValuA_X0_I0+0+0+0+1], v[0:3]
/*  mfmaIndex:1  */
_ds_load_u16 v[vgprValuA_X1_I0+0], v[vgprLocalReadAddrA] offset:512 // L -> Reg lro=256 swapByteOffset=0 ti=64 vIdx=0 rIdx=0 oIdx=0 buffer=1 iui=0
_ds_load_u16_d16_hi v161, v[vgprLocalReadAddrA] offset:640 // L -> Reg lro=256 swapByteOffset=0 ti=64 vIdx=0 rIdx=1 oIdx=0 buffer=1 iui=0
v_mfma_f32_16x16x16_bf16 v[4+0:7+0], v[vgprValuB_X0_I0+0+0+0:vgprValuB_X0_I0+0+0+0+1], v[vgprValuA_X0_I0+2+0+0:vgprValuA_X0_I0+2+0+0+1], v[4:7]
/*  mfmaIndex:2  */
_ds_load_u16 v[vgprValuA_X1_I0+1], v[vgprLocalReadAddrA] offset:768 // L -> Reg lro=256 swapByteOffset=0 ti=64 vIdx=0 rIdx=2 oIdx=0 buffer=1 iui=0
_ds_load_u16_d16_hi v162, v[vgprLocalReadAddrA] offset:896 // L -> Reg lro=256 swapByteOffset=0 ti=64 vIdx=0 rIdx=3 oIdx=0 buffer=1 iui=0
v_mfma_f32_16x16x16_bf16 v[12+0:15+0], v[vgprValuB_X0_I0+4+0+0:vgprValuB_X0_I0+4+0+0+1], v[vgprValuA_X0_I0+2+0+0:vgprValuA_X0_I0+2+0+0+1], v[12:15]
/*  mfmaIndex:3  */
_ds_load_b128 v[vgprValuB_X2_I0+0:vgprValuB_X2_I0+0+3], v[vgprLocalReadAddrB] offset:64 // L -> Reg lro=32 swapByteOffset=0 ti=32 vIdx=0 rIdx=0 oIdx=0 buffer=2 iui=0
_ds_load_u16 v[vgprValuA_X1_I0+2], v[vgprLocalReadAddrA] offset:514 // L -> Reg lro=256 swapByteOffset=0 ti=64 vIdx=0 rIdx=0 oIdx=0 buffer=1 iui=0
v_mfma_f32_16x16x16_bf16 v[8+0:11+0], v[vgprValuB_X0_I0+4+0+0:vgprValuB_X0_I0+4+0+0+1], v[vgprValuA_X0_I0+0+0+0:vgprValuA_X0_I0+0+0+0+1], v[8:11]
/*  mfmaIndex:4  */
_ds_load_u16_d16_hi v163, v[vgprLocalReadAddrA] offset:642 // L -> Reg lro=256 swapByteOffset=0 ti=64 vIdx=0 rIdx=1 oIdx=0 buffer=1 iui=0
v_mfma_f32_16x16x16_bf16 v[16+0:19+0], v[vgprValuB_X0_I0+8+0+0:vgprValuB_X0_I0+8+0+0+1], v[vgprValuA_X0_I0+0+0+0:vgprValuA_X0_I0+0+0+0+1], v[16:19]
/*  mfmaIndex:5  */
_ds_load_u16 v[vgprValuA_X1_I0+3], v[vgprLocalReadAddrA] offset:770 // L -> Reg lro=256 swapByteOffset=0 ti=64 vIdx=0 rIdx=2 oIdx=0 buffer=1 iui=0
v_mfma_f32_16x16x16_bf16 v[20+0:23+0], v[vgprValuB_X0_I0+8+0+0:vgprValuB_X0_I0+8+0+0+1], v[vgprValuA_X0_I0+2+0+0:vgprValuA_X0_I0+2+0+0+1], v[20:23]
/*  mfmaIndex:6  */
_ds_load_u16_d16_hi v164, v[vgprLocalReadAddrA] offset:898 // L -> Reg lro=256 swapByteOffset=0 ti=64 vIdx=0 rIdx=3 oIdx=0 buffer=1 iui=0
v_mfma_f32_16x16x16_bf16 v[28+0:31+0], v[vgprValuB_X0_I0+12+0+0:vgprValuB_X0_I0+12+0+0+1], v[vgprValuA_X0_I0+2+0+0:vgprValuA_X0_I0+2+0+0+1], v[28:31]
/*  mfmaIndex:7  */
_ds_load_b128 v[vgprValuB_X2_I0+4:vgprValuB_X2_I0+4+3], v[vgprLocalReadAddrB] offset:5184 // L -> Reg lro=32 swapByteOffset=0 ti=32 vIdx=1 rIdx=0 oIdx=0 buffer=2 iui=0
v_mfma_f32_16x16x16_bf16 v[24+0:27+0], v[vgprValuB_X0_I0+12+0+0:vgprValuB_X0_I0+12+0+0+1], v[vgprValuA_X0_I0+0+0+0:vgprValuA_X0_I0+0+0+0+1], v[24:27]
/*  mfmaIndex:8  */
_ds_load_b128 v[vgprValuB_X2_I0+8:vgprValuB_X2_I0+8+3], v[vgprLocalReadAddrB] offset:10304 // L -> Reg lro=32 swapByteOffset=0 ti=32 vIdx=2 rIdx=0 oIdx=0 buffer=2 iui=0
	;; [unrolled: 3-line block ×5, first 2 shown]
v_mfma_f32_16x16x16_bf16 v[40+0:43+0], v[vgprValuB_X0_I0+20+0+0:vgprValuB_X0_I0+20+0+0+1], v[vgprValuA_X0_I0+0+0+0:vgprValuA_X0_I0+0+0+0+1], v[40:43]
/* numPrefetchIter=0 */
/* dataAtIterA=-1 numReadsIterA=1 skipReadsIterA=1 readsPerIterA=8 */
/* dataAtIterB=-1 numReadsIterB=1 skipReadsIterB=1 readsPerIterB=6 */


/* iter 1 (last unrolled loop) */

/*  grEndMfmaIndex:0, lwStartMfmaIndex:33, lwEndMfmaIndex:33  */
/*  numMfmaForLR:11, barrierMfmaIndex:36, LocalWritePerMfma:3.120 */
/*  mfmaIndex:12  */
_ds_load_u16 v[vgprValuA_X2_I0+0], v[vgprLocalReadAddrA] offset:4352 // L -> Reg lro=2048 swapByteOffset=0 ti=64 vIdx=0 rIdx=0 oIdx=0 buffer=2 iui=0
s_waitcnt lgkmcnt(1)                               // lgkmcnt=0 vmcnt=-1wait for prior local read local write old=0, new=1 newLW=0 newLR=1
/* pack scheduling: packAIdx:2, packBIdx:0 */
v_or_b32 v[vgprValuA_X1_I0+0], v[vgprValuA_X1_I0+0], v161 // pack two half Vgpr to one Vgpr
v_or_b32 v[vgprValuA_X1_I0+1], v[vgprValuA_X1_I0+1], v162 // pack two half Vgpr to one Vgpr
	;; [unrolled: 1-line block ×4, first 2 shown]
v_mfma_f32_16x16x16_bf16 v[0+0:3+0], v[vgprValuB_X0_I0+0+2+0:vgprValuB_X0_I0+0+2+0+1], v[vgprValuA_X1_I0+0+0+0:vgprValuA_X1_I0+0+0+0+1], v[0:3]
/*  mfmaIndex:13  */
_ds_load_u16_d16_hi v157, v[vgprLocalReadAddrA] offset:4480 // L -> Reg lro=2048 swapByteOffset=0 ti=64 vIdx=0 rIdx=1 oIdx=0 buffer=2 iui=0
v_mfma_f32_16x16x16_bf16 v[4+0:7+0], v[vgprValuB_X0_I0+0+2+0:vgprValuB_X0_I0+0+2+0+1], v[vgprValuA_X1_I0+2+0+0:vgprValuA_X1_I0+2+0+0+1], v[4:7]
/*  mfmaIndex:14  */
_ds_load_u16 v[vgprValuA_X2_I0+1], v[vgprLocalReadAddrA] offset:4608 // L -> Reg lro=2048 swapByteOffset=0 ti=64 vIdx=0 rIdx=2 oIdx=0 buffer=2 iui=0
v_mfma_f32_16x16x16_bf16 v[12+0:15+0], v[vgprValuB_X0_I0+4+2+0:vgprValuB_X0_I0+4+2+0+1], v[vgprValuA_X1_I0+2+0+0:vgprValuA_X1_I0+2+0+0+1], v[12:15]
/*  mfmaIndex:15  */
_ds_load_u16_d16_hi v158, v[vgprLocalReadAddrA] offset:4736 // L -> Reg lro=2048 swapByteOffset=0 ti=64 vIdx=0 rIdx=3 oIdx=0 buffer=2 iui=0
v_mfma_f32_16x16x16_bf16 v[8+0:11+0], v[vgprValuB_X0_I0+4+2+0:vgprValuB_X0_I0+4+2+0+1], v[vgprValuA_X1_I0+0+0+0:vgprValuA_X1_I0+0+0+0+1], v[8:11]
/*  mfmaIndex:16  */
_ds_load_u16 v[vgprValuA_X2_I0+2], v[vgprLocalReadAddrA] offset:4354 // L -> Reg lro=2048 swapByteOffset=0 ti=64 vIdx=0 rIdx=0 oIdx=0 buffer=2 iui=0
	;; [unrolled: 6-line block ×3, first 2 shown]
v_mfma_f32_16x16x16_bf16 v[28+0:31+0], v[vgprValuB_X0_I0+12+2+0:vgprValuB_X0_I0+12+2+0+1], v[vgprValuA_X1_I0+2+0+0:vgprValuA_X1_I0+2+0+0+1], v[28:31]
/*  mfmaIndex:19  */
_ds_load_u16_d16_hi v160, v[vgprLocalReadAddrA] offset:4738 // L -> Reg lro=2048 swapByteOffset=0 ti=64 vIdx=0 rIdx=3 oIdx=0 buffer=2 iui=0
v_mfma_f32_16x16x16_bf16 v[24+0:27+0], v[vgprValuB_X0_I0+12+2+0:vgprValuB_X0_I0+12+2+0+1], v[vgprValuA_X1_I0+0+0+0:vgprValuA_X1_I0+0+0+0+1], v[24:27]
/*  mfmaIndex:20  */
/* localReadsVacancy: latencyLeft 2 */
_ds_load_u16 v[vgprValuA_X3_I0+0], v[vgprLocalReadAddrA] offset:4864 // L -> Reg lro=2304 swapByteOffset=0 ti=64 vIdx=0 rIdx=0 oIdx=0 buffer=3 iui=0
v_mfma_f32_16x16x16_bf16 v[32+0:35+0], v[vgprValuB_X0_I0+16+2+0:vgprValuB_X0_I0+16+2+0+1], v[vgprValuA_X1_I0+0+0+0:vgprValuA_X1_I0+0+0+0+1], v[32:35]
/*  mfmaIndex:21  */
/* localReadsVacancy: latencyLeft 2 */
_ds_load_u16 v[vgprValuA_X3_I0+1], v[vgprLocalReadAddrA] offset:5120 // L -> Reg lro=2304 swapByteOffset=0 ti=64 vIdx=0 rIdx=2 oIdx=0 buffer=3 iui=0
	;; [unrolled: 4-line block ×4, first 2 shown]
v_mfma_f32_16x16x16_bf16 v[40+0:43+0], v[vgprValuB_X0_I0+20+2+0:vgprValuB_X0_I0+20+2+0+1], v[vgprValuA_X1_I0+0+0+0:vgprValuA_X1_I0+0+0+0+1], v[40:43]
/* numPrefetchIter=0 */
/* dataAtIterA=0 numReadsIterA=2 skipReadsIterA=1 readsPerIterA=8 */
/* dataAtIterB=-1 numReadsIterB=1 skipReadsIterB=0 readsPerIterB=6 */


/* iter 2 (last unrolled loop) */

/*  grEndMfmaIndex:0, lwStartMfmaIndex:33, lwEndMfmaIndex:33  */
/*  numMfmaForLR:11, barrierMfmaIndex:36, LocalWritePerMfma:3.120 */
/*  mfmaIndex:24  */
_ds_load_u16_d16_hi v161, v[vgprLocalReadAddrA] offset:4992 // L -> Reg lro=2304 swapByteOffset=0 ti=64 vIdx=0 rIdx=1 oIdx=0 buffer=3 iui=0
s_waitcnt lgkmcnt(5)                               // lgkmcnt=0 vmcnt=-1wait for prior local read local write old=4, new=5 newLW=0 newLR=1
/* pack scheduling: packAIdx:2, packBIdx:0 */
v_or_b32 v[vgprValuA_X2_I0+0], v[vgprValuA_X2_I0+0], v157 // pack two half Vgpr to one Vgpr
v_or_b32 v[vgprValuA_X2_I0+1], v[vgprValuA_X2_I0+1], v158 // pack two half Vgpr to one Vgpr
	;; [unrolled: 1-line block ×4, first 2 shown]
v_mfma_f32_16x16x16_bf16 v[0+0:3+0], v[vgprValuB_X2_I0+0+0+0:vgprValuB_X2_I0+0+0+0+1], v[vgprValuA_X2_I0+0+0+0:vgprValuA_X2_I0+0+0+0+1], v[0:3]
/*  mfmaIndex:25  */
_ds_load_u16_d16_hi v162, v[vgprLocalReadAddrA] offset:5248 // L -> Reg lro=2304 swapByteOffset=0 ti=64 vIdx=0 rIdx=3 oIdx=0 buffer=3 iui=0
v_mfma_f32_16x16x16_bf16 v[4+0:7+0], v[vgprValuB_X2_I0+0+0+0:vgprValuB_X2_I0+0+0+0+1], v[vgprValuA_X2_I0+2+0+0:vgprValuA_X2_I0+2+0+0+1], v[4:7]
/*  mfmaIndex:26  */
_ds_load_u16_d16_hi v163, v[vgprLocalReadAddrA] offset:4994 // L -> Reg lro=2304 swapByteOffset=0 ti=64 vIdx=0 rIdx=1 oIdx=0 buffer=3 iui=0
	;; [unrolled: 3-line block ×3, first 2 shown]
v_mfma_f32_16x16x16_bf16 v[8+0:11+0], v[vgprValuB_X2_I0+4+0+0:vgprValuB_X2_I0+4+0+0+1], v[vgprValuA_X2_I0+0+0+0:vgprValuA_X2_I0+0+0+0+1], v[8:11]
/*  mfmaIndex:28  */
/* localReadsVacancy: latencyLeft 2 */
v_mfma_f32_16x16x16_bf16 v[16+0:19+0], v[vgprValuB_X2_I0+8+0+0:vgprValuB_X2_I0+8+0+0+1], v[vgprValuA_X2_I0+0+0+0:vgprValuA_X2_I0+0+0+0+1], v[16:19]
/*  mfmaIndex:29  */
/* localReadsVacancy: latencyLeft 2 */
	;; [unrolled: 3-line block ×5, first 2 shown]
/* 1 LDS buffer: read-sync-write */
s_waitcnt lgkmcnt(0)                               // 
s_barrier                                          // 
v_mfma_f32_16x16x16_bf16 v[32+0:35+0], v[vgprValuB_X2_I0+16+0+0:vgprValuB_X2_I0+16+0+0+1], v[vgprValuA_X2_I0+0+0+0:vgprValuA_X2_I0+0+0+0+1], v[32:35]
/*  mfmaIndex:33  */
/* localReadsVacancy: latencyLeft 2 */
s_setprio 3                                        // store optimization
v_mfma_f32_16x16x16_bf16 v[36+0:39+0], v[vgprValuB_X2_I0+16+0+0:vgprValuB_X2_I0+16+0+0+1], v[vgprValuA_X2_I0+2+0+0:vgprValuA_X2_I0+2+0+0+1], v[36:39]
/*  mfmaIndex:34  */
v_mfma_f32_16x16x16_bf16 v[44+0:47+0], v[vgprValuB_X2_I0+20+0+0:vgprValuB_X2_I0+20+0+0+1], v[vgprValuA_X2_I0+2+0+0:vgprValuA_X2_I0+2+0+0+1], v[44:47]
/*  mfmaIndex:35  */
v_mfma_f32_16x16x16_bf16 v[40+0:43+0], v[vgprValuB_X2_I0+20+0+0:vgprValuB_X2_I0+20+0+0+1], v[vgprValuA_X2_I0+0+0+0:vgprValuA_X2_I0+0+0+0+1], v[40:43]
s_setprio 0                                        // store optimization
/* numPrefetchIter=0 */
/* dataAtIterA=1 numReadsIterA=3 skipReadsIterA=1 readsPerIterA=8 */
/* dataAtIterB=0 numReadsIterB=1 skipReadsIterB=0 readsPerIterB=6 */


/* iter 3 (last unrolled loop) */

/*  grEndMfmaIndex:0, lwStartMfmaIndex:33, lwEndMfmaIndex:33  */
/*  numMfmaForLR:11, barrierMfmaIndex:36, LocalWritePerMfma:3.120 */
/*  mfmaIndex:36  */
/* pack scheduling: packAIdx:2, packBIdx:0 */
v_or_b32 v[vgprValuA_X3_I0+0], v[vgprValuA_X3_I0+0], v161 // pack two half Vgpr to one Vgpr
v_or_b32 v[vgprValuA_X3_I0+1], v[vgprValuA_X3_I0+1], v162 // pack two half Vgpr to one Vgpr
	;; [unrolled: 1-line block ×4, first 2 shown]
v_mfma_f32_16x16x16_bf16 v[0+0:3+0], v[vgprValuB_X2_I0+0+2+0:vgprValuB_X2_I0+0+2+0+1], v[vgprValuA_X3_I0+0+0+0:vgprValuA_X3_I0+0+0+0+1], v[0:3]
/*  mfmaIndex:37  */
s_setprio 3                                        // store optimization
v_mfma_f32_16x16x16_bf16 v[4+0:7+0], v[vgprValuB_X2_I0+0+2+0:vgprValuB_X2_I0+0+2+0+1], v[vgprValuA_X3_I0+2+0+0:vgprValuA_X3_I0+2+0+0+1], v[4:7]
/*  mfmaIndex:38  */
v_mfma_f32_16x16x16_bf16 v[12+0:15+0], v[vgprValuB_X2_I0+4+2+0:vgprValuB_X2_I0+4+2+0+1], v[vgprValuA_X3_I0+2+0+0:vgprValuA_X3_I0+2+0+0+1], v[12:15]
/*  mfmaIndex:39  */
	;; [unrolled: 2-line block ×10, first 2 shown]
v_mfma_f32_16x16x16_bf16 v[40+0:43+0], v[vgprValuB_X2_I0+20+2+0:vgprValuB_X2_I0+20+2+0+1], v[vgprValuA_X3_I0+0+0+0:vgprValuA_X3_I0+0+0+0+1], v[40:43]

/* Stores for OptNLL */
Summation_End_OptNLL_18:
s_setprio 0                                        // optimization store
/* endSummation: add vgpr [48...154) to pool */
.set NumFullBlocks, UNDEF
.set WgmRemainder1, UNDEF
.set MagicNumberWgmRemainder1, UNDEF

/* Mapping of Acc register -> C Vgpr register */

/* Multiply MI out register with Alpha -> C Vgpr register */
/* computeStoreVgprs */
v_lshrrev_b32 v52, 6, v[vgprSerial]                // v52 = v[vgprSerial] / 64
v_and_b32 v49, 63, v[vgprSerial]                   // v49 = v[vgprSerial] % 64
v_lshrrev_b32 v49, 4, v49                          // v49 = v49 / 16
v_lshlrev_b32 v49, 0x2, v49                        // thread0 * continuous_output
v_lshrrev_b32 v53, 1, v52                          // v53 = v52 / 2
v_mul_lo_u32 v53, 0x10, v53                        // wave coordination offset 1
_v_add_lshl_u32 v49, v53, v49, 0                   // coordination 1 = vwb *(wave_id1 + tid1)
v_mul_lo_u32 v50, v49, s[sgprStrideC1J]            //  offset 1
v_mul_lo_u32 v51, v49, s[sgprStrideD1J]            //  offset 1
v_and_b32 v53, 1, v52                              // v53 = v52 % 2
v_mul_lo_u32 v53, 0x10, v53                        // wave coordination offset 0
v_and_b32 v48, 15, v[vgprSerial]                   // v48 = v[vgprSerial] % 16
_v_add_lshl_u32 v48, v53, v48, 1                   // coordination 0 = vwa *(wave_id0 + tid0)
s_mul_i32 s53, 64, s[sgprWorkGroup0]               // wgp0 * MT0
_v_add_u32 v48, s53, v48                           // coord 0 = (tid0/MI_m)*4 + waveG0*MIB_m + MT0*SG0
s_mul_i32 s53, 192, s[sgprWorkGroup1]              // wgp1 * MT1
_v_add_u32 v49, s53, v49                           // coord 1 = (tid0%MI_m) + waveG1*MIB_n + MT1*SG1
GW_B0_E0_21:

/* edge=0, allocate 2 sgpr. perBatchTmpS=2 perBatchMaskS=0 perElementMaskS=0 elementsPerBatch=96 */
/* optSingleColVgpr=1 optSharedColVgpr=0 optSGPRUsage=BufferLoad_Mask optSrdIncForRow=1 */

/******************************************/
/* Global Write Batch #0 (d1,d0,vc1,vc0) = */
/*    (0,0,0,0:vw2); (0,0,1,0:vw2); (0,0,2,0:vw2); (0,0,3,0:vw2); (1,0,0,0:vw2); (1,0,1,0:vw2); (1,0,2,0:vw2); (1,0,3,0:vw2); (2,0,0,0:vw2); (2,0,1,0:vw2); (2,0,2,0:vw2); (2,0,3,0:vw2); (3,0,0,0:vw2); (3,0,1,0:vw2); (3,0,2,0:vw2); (3,0,3,0:vw2); (4,0,0,0:vw2); (4,0,1,0:vw2); (4,0,2,0:vw2); (4,0,3,0:vw2); (5,0,0,0:vw2); (5,0,1,0:vw2); (5,0,2,0:vw2); (5,0,3,0:vw2) */
/******************************************/

/* calc coords, apply mask, and issue loads (if necessary) */
/* (d1,vc1,d0,vc0)=(0,0,0,0) */
/* (d1,vc1,d0,vc0)=(0,1,0,0) */
	;; [unrolled: 1-line block ×24, first 2 shown]
_v_add_lshl_u32 v58, v51, v48, 0x1                 // optSingleColVgpr scaleToBpe: sharedAddrVgpr <- cinRowPtr + coord0, scaled by BPE. BSHERE:coord0=48, coord0Vgpr=48
v_mov_b32 v[vgprValuC+60], v[vgprValuC+0] // copy MI out reg to vreg[0]
v_mov_b32 v[vgprValuC+61], v[vgprValuC+4] // copy MI out reg to vreg[1]
	;; [unrolled: 1-line block ×48, first 2 shown]

/* apply mask, calc new C and issue writes */
v_mov_b32 v55, 0xffff0000                          // mask for pack two bfloat16 element to 32bit
v_mov_b32 v56, 0x7fff0000                          // fp32 Nan
v_mov_b32 v57, 0x7fff                              // rounding bias for bfloat16
v_cmp_u_f32 s[54:55], v[vgprValuC+60], v[vgprValuC+60] // check Nan
v_bfe_u32 v54, v[vgprValuC+60], 16, 1              // Non-Nan case: store lsb of bf16
v_add3_u32 v54, v[vgprValuC+60], v54, v57          // Non-Nan case: add lsb and the increment for rounding
v_cndmask_b32 v[vgprValuC+60], v54, v56, s[54:55]  // 
v_lshrrev_b32 v[vgprValuC+60], 16, v[vgprValuC+60] // convert C to bf16
v_cmp_u_f32 s[54:55], v[vgprValuC+61], v[vgprValuC+61] // check Nan
v_bfe_u32 v54, v[vgprValuC+61], 16, 1              // Non-Nan case: store lsb of bf16
v_add3_u32 v54, v[vgprValuC+61], v54, v57          // Non-Nan case: add lsb and the increment for rounding
v_cndmask_b32 v[vgprValuC+61], v54, v56, s[54:55]  // 
v_and_or_b32 v60, v[vgprValuC+61], v55, v[vgprValuC+60] // pack two bf16 to dword
_buffer_store_b32 v60, v58, s[sgprSrdD:sgprSrdD+3], 0, offen, offset:0,  sc1 // store D
v_cmp_u_f32 s[54:55], v[vgprValuC+62], v[vgprValuC+62] // check Nan
v_bfe_u32 v54, v[vgprValuC+62], 16, 1              // Non-Nan case: store lsb of bf16
v_add3_u32 v54, v[vgprValuC+62], v54, v57          // Non-Nan case: add lsb and the increment for rounding
v_cndmask_b32 v[vgprValuC+62], v54, v56, s[54:55]  // 
v_lshrrev_b32 v[vgprValuC+62], 16, v[vgprValuC+62] // convert C to bf16
v_cmp_u_f32 s[54:55], v[vgprValuC+63], v[vgprValuC+63] // check Nan
v_bfe_u32 v54, v[vgprValuC+63], 16, 1              // Non-Nan case: store lsb of bf16
v_add3_u32 v54, v[vgprValuC+63], v54, v57          // Non-Nan case: add lsb and the increment for rounding
v_cndmask_b32 v[vgprValuC+63], v54, v56, s[54:55]  // 
v_and_or_b32 v62, v[vgprValuC+63], v55, v[vgprValuC+62] // pack two bf16 to dword
s_lshl_b32  s54, s[sgprStrideD1J], 1               // incToNextRow: Scale by BPE
s_add_u32  s[sgprSrdD+0], s[sgprSrdD+0], s54       // incToNextRow: gra SRD += inc(lower)
s_addc_u32  s[sgprSrdD+1], s[sgprSrdD+1], 0        // incToNextRow: gra SRD += inc(upper)
_buffer_store_b32 v62, v58, s[sgprSrdD:sgprSrdD+3], 0, offen, offset:0,  sc1 // store D
v_cmp_u_f32 s[54:55], v[vgprValuC+64], v[vgprValuC+64] // check Nan
v_bfe_u32 v54, v[vgprValuC+64], 16, 1              // Non-Nan case: store lsb of bf16
v_add3_u32 v54, v[vgprValuC+64], v54, v57          // Non-Nan case: add lsb and the increment for rounding
v_cndmask_b32 v[vgprValuC+64], v54, v56, s[54:55]  // 
v_lshrrev_b32 v[vgprValuC+64], 16, v[vgprValuC+64] // convert C to bf16
v_cmp_u_f32 s[54:55], v[vgprValuC+65], v[vgprValuC+65] // check Nan
v_bfe_u32 v54, v[vgprValuC+65], 16, 1              // Non-Nan case: store lsb of bf16
v_add3_u32 v54, v[vgprValuC+65], v54, v57          // Non-Nan case: add lsb and the increment for rounding
v_cndmask_b32 v[vgprValuC+65], v54, v56, s[54:55]  // 
v_and_or_b32 v64, v[vgprValuC+65], v55, v[vgprValuC+64] // pack two bf16 to dword
s_lshl_b32  s54, s[sgprStrideD1J], 1               // incToNextRow: Scale by BPE
s_add_u32  s[sgprSrdD+0], s[sgprSrdD+0], s54       // incToNextRow: gra SRD += inc(lower)
s_addc_u32  s[sgprSrdD+1], s[sgprSrdD+1], 0        // incToNextRow: gra SRD += inc(upper)
_buffer_store_b32 v64, v58, s[sgprSrdD:sgprSrdD+3], 0, offen, offset:0,  sc1 // store D
v_cmp_u_f32 s[54:55], v[vgprValuC+66], v[vgprValuC+66] // check Nan
v_bfe_u32 v54, v[vgprValuC+66], 16, 1              // Non-Nan case: store lsb of bf16
v_add3_u32 v54, v[vgprValuC+66], v54, v57          // Non-Nan case: add lsb and the increment for rounding
v_cndmask_b32 v[vgprValuC+66], v54, v56, s[54:55]  // 
v_lshrrev_b32 v[vgprValuC+66], 16, v[vgprValuC+66] // convert C to bf16
v_cmp_u_f32 s[54:55], v[vgprValuC+67], v[vgprValuC+67] // check Nan
v_bfe_u32 v54, v[vgprValuC+67], 16, 1              // Non-Nan case: store lsb of bf16
v_add3_u32 v54, v[vgprValuC+67], v54, v57          // Non-Nan case: add lsb and the increment for rounding
v_cndmask_b32 v[vgprValuC+67], v54, v56, s[54:55]  // 
v_and_or_b32 v66, v[vgprValuC+67], v55, v[vgprValuC+66] // pack two bf16 to dword
s_lshl_b32  s54, s[sgprStrideD1J], 1               // incToNextRow: Scale by BPE
s_add_u32  s[sgprSrdD+0], s[sgprSrdD+0], s54       // incToNextRow: gra SRD += inc(lower)
s_addc_u32  s[sgprSrdD+1], s[sgprSrdD+1], 0        // incToNextRow: gra SRD += inc(upper)
_buffer_store_b32 v66, v58, s[sgprSrdD:sgprSrdD+3], 0, offen, offset:0,  sc1 // store D
v_cmp_u_f32 s[54:55], v[vgprValuC+68], v[vgprValuC+68] // check Nan
v_bfe_u32 v54, v[vgprValuC+68], 16, 1              // Non-Nan case: store lsb of bf16
v_add3_u32 v54, v[vgprValuC+68], v54, v57          // Non-Nan case: add lsb and the increment for rounding
v_cndmask_b32 v[vgprValuC+68], v54, v56, s[54:55]  // 
v_lshrrev_b32 v[vgprValuC+68], 16, v[vgprValuC+68] // convert C to bf16
v_cmp_u_f32 s[54:55], v[vgprValuC+69], v[vgprValuC+69] // check Nan
v_bfe_u32 v54, v[vgprValuC+69], 16, 1              // Non-Nan case: store lsb of bf16
v_add3_u32 v54, v[vgprValuC+69], v54, v57          // Non-Nan case: add lsb and the increment for rounding
v_cndmask_b32 v[vgprValuC+69], v54, v56, s[54:55]  // 
v_and_or_b32 v68, v[vgprValuC+69], v55, v[vgprValuC+68] // pack two bf16 to dword
s_mul_i32 s54, s[sgprStrideD1J], 58                // scale StrideD *= numRows(29) * bpe
s_add_u32  s[sgprSrdD+0], s[sgprSrdD+0], s54       // incToNextRow: gra SRD += inc(lower)
s_addc_u32  s[sgprSrdD+1], s[sgprSrdD+1], 0        // incToNextRow: gra SRD += inc(upper)
_buffer_store_b32 v68, v58, s[sgprSrdD:sgprSrdD+3], 0, offen, offset:0,  sc1 // store D
v_cmp_u_f32 s[54:55], v[vgprValuC+70], v[vgprValuC+70] // check Nan
v_bfe_u32 v54, v[vgprValuC+70], 16, 1              // Non-Nan case: store lsb of bf16
v_add3_u32 v54, v[vgprValuC+70], v54, v57          // Non-Nan case: add lsb and the increment for rounding
v_cndmask_b32 v[vgprValuC+70], v54, v56, s[54:55]  // 
v_lshrrev_b32 v[vgprValuC+70], 16, v[vgprValuC+70] // convert C to bf16
v_cmp_u_f32 s[54:55], v[vgprValuC+71], v[vgprValuC+71] // check Nan
v_bfe_u32 v54, v[vgprValuC+71], 16, 1              // Non-Nan case: store lsb of bf16
v_add3_u32 v54, v[vgprValuC+71], v54, v57          // Non-Nan case: add lsb and the increment for rounding
v_cndmask_b32 v[vgprValuC+71], v54, v56, s[54:55]  // 
v_and_or_b32 v70, v[vgprValuC+71], v55, v[vgprValuC+70] // pack two bf16 to dword
s_lshl_b32  s54, s[sgprStrideD1J], 1               // incToNextRow: Scale by BPE
s_add_u32  s[sgprSrdD+0], s[sgprSrdD+0], s54       // incToNextRow: gra SRD += inc(lower)
s_addc_u32  s[sgprSrdD+1], s[sgprSrdD+1], 0        // incToNextRow: gra SRD += inc(upper)
_buffer_store_b32 v70, v58, s[sgprSrdD:sgprSrdD+3], 0, offen, offset:0,  sc1 // store D
v_cmp_u_f32 s[54:55], v[vgprValuC+72], v[vgprValuC+72] // check Nan
v_bfe_u32 v54, v[vgprValuC+72], 16, 1              // Non-Nan case: store lsb of bf16
v_add3_u32 v54, v[vgprValuC+72], v54, v57          // Non-Nan case: add lsb and the increment for rounding
v_cndmask_b32 v[vgprValuC+72], v54, v56, s[54:55]  // 
v_lshrrev_b32 v[vgprValuC+72], 16, v[vgprValuC+72] // convert C to bf16
v_cmp_u_f32 s[54:55], v[vgprValuC+73], v[vgprValuC+73] // check Nan
v_bfe_u32 v54, v[vgprValuC+73], 16, 1              // Non-Nan case: store lsb of bf16
v_add3_u32 v54, v[vgprValuC+73], v54, v57          // Non-Nan case: add lsb and the increment for rounding
v_cndmask_b32 v[vgprValuC+73], v54, v56, s[54:55]  // 
v_and_or_b32 v72, v[vgprValuC+73], v55, v[vgprValuC+72] // pack two bf16 to dword
s_lshl_b32  s54, s[sgprStrideD1J], 1               // incToNextRow: Scale by BPE
s_add_u32  s[sgprSrdD+0], s[sgprSrdD+0], s54       // incToNextRow: gra SRD += inc(lower)
s_addc_u32  s[sgprSrdD+1], s[sgprSrdD+1], 0        // incToNextRow: gra SRD += inc(upper)
_buffer_store_b32 v72, v58, s[sgprSrdD:sgprSrdD+3], 0, offen, offset:0,  sc1 // store D
v_cmp_u_f32 s[54:55], v[vgprValuC+74], v[vgprValuC+74] // check Nan
v_bfe_u32 v54, v[vgprValuC+74], 16, 1              // Non-Nan case: store lsb of bf16
v_add3_u32 v54, v[vgprValuC+74], v54, v57          // Non-Nan case: add lsb and the increment for rounding
v_cndmask_b32 v[vgprValuC+74], v54, v56, s[54:55]  // 
v_lshrrev_b32 v[vgprValuC+74], 16, v[vgprValuC+74] // convert C to bf16
v_cmp_u_f32 s[54:55], v[vgprValuC+75], v[vgprValuC+75] // check Nan
v_bfe_u32 v54, v[vgprValuC+75], 16, 1              // Non-Nan case: store lsb of bf16
v_add3_u32 v54, v[vgprValuC+75], v54, v57          // Non-Nan case: add lsb and the increment for rounding
v_cndmask_b32 v[vgprValuC+75], v54, v56, s[54:55]  // 
v_and_or_b32 v74, v[vgprValuC+75], v55, v[vgprValuC+74] // pack two bf16 to dword
s_lshl_b32  s54, s[sgprStrideD1J], 1               // incToNextRow: Scale by BPE
s_add_u32  s[sgprSrdD+0], s[sgprSrdD+0], s54       // incToNextRow: gra SRD += inc(lower)
s_addc_u32  s[sgprSrdD+1], s[sgprSrdD+1], 0        // incToNextRow: gra SRD += inc(upper)
_buffer_store_b32 v74, v58, s[sgprSrdD:sgprSrdD+3], 0, offen, offset:0,  sc1 // store D
v_cmp_u_f32 s[54:55], v[vgprValuC+76], v[vgprValuC+76] // check Nan
v_bfe_u32 v54, v[vgprValuC+76], 16, 1              // Non-Nan case: store lsb of bf16
v_add3_u32 v54, v[vgprValuC+76], v54, v57          // Non-Nan case: add lsb and the increment for rounding
v_cndmask_b32 v[vgprValuC+76], v54, v56, s[54:55]  // 
v_lshrrev_b32 v[vgprValuC+76], 16, v[vgprValuC+76] // convert C to bf16
v_cmp_u_f32 s[54:55], v[vgprValuC+77], v[vgprValuC+77] // check Nan
v_bfe_u32 v54, v[vgprValuC+77], 16, 1              // Non-Nan case: store lsb of bf16
v_add3_u32 v54, v[vgprValuC+77], v54, v57          // Non-Nan case: add lsb and the increment for rounding
v_cndmask_b32 v[vgprValuC+77], v54, v56, s[54:55]  // 
v_and_or_b32 v76, v[vgprValuC+77], v55, v[vgprValuC+76] // pack two bf16 to dword
s_mul_i32 s54, s[sgprStrideD1J], 58                // scale StrideD *= numRows(29) * bpe
s_add_u32  s[sgprSrdD+0], s[sgprSrdD+0], s54       // incToNextRow: gra SRD += inc(lower)
s_addc_u32  s[sgprSrdD+1], s[sgprSrdD+1], 0        // incToNextRow: gra SRD += inc(upper)
	;; [unrolled: 56-line block ×4, first 2 shown]
_buffer_store_b32 v92, v58, s[sgprSrdD:sgprSrdD+3], 0, offen, offset:0,  sc1 // store D
v_cmp_u_f32 s[54:55], v[vgprValuC+94], v[vgprValuC+94] // check Nan
v_bfe_u32 v54, v[vgprValuC+94], 16, 1              // Non-Nan case: store lsb of bf16
v_add3_u32 v54, v[vgprValuC+94], v54, v57          // Non-Nan case: add lsb and the increment for rounding
v_cndmask_b32 v[vgprValuC+94], v54, v56, s[54:55]  // 
v_lshrrev_b32 v[vgprValuC+94], 16, v[vgprValuC+94] // convert C to bf16
v_cmp_u_f32 s[54:55], v[vgprValuC+95], v[vgprValuC+95] // check Nan
v_bfe_u32 v54, v[vgprValuC+95], 16, 1              // Non-Nan case: store lsb of bf16
v_add3_u32 v54, v[vgprValuC+95], v54, v57          // Non-Nan case: add lsb and the increment for rounding
v_cndmask_b32 v[vgprValuC+95], v54, v56, s[54:55]  // 
v_and_or_b32 v94, v[vgprValuC+95], v55, v[vgprValuC+94] // pack two bf16 to dword
s_lshl_b32  s54, s[sgprStrideD1J], 1               // incToNextRow: Scale by BPE
s_add_u32  s[sgprSrdD+0], s[sgprSrdD+0], s54       // incToNextRow: gra SRD += inc(lower)
s_addc_u32  s[sgprSrdD+1], s[sgprSrdD+1], 0        // incToNextRow: gra SRD += inc(upper)
_buffer_store_b32 v94, v58, s[sgprSrdD:sgprSrdD+3], 0, offen, offset:0,  sc1 // store D
v_cmp_u_f32 s[54:55], v[vgprValuC+96], v[vgprValuC+96] // check Nan
v_bfe_u32 v54, v[vgprValuC+96], 16, 1              // Non-Nan case: store lsb of bf16
v_add3_u32 v54, v[vgprValuC+96], v54, v57          // Non-Nan case: add lsb and the increment for rounding
v_cndmask_b32 v[vgprValuC+96], v54, v56, s[54:55]  // 
v_lshrrev_b32 v[vgprValuC+96], 16, v[vgprValuC+96] // convert C to bf16
v_cmp_u_f32 s[54:55], v[vgprValuC+97], v[vgprValuC+97] // check Nan
v_bfe_u32 v54, v[vgprValuC+97], 16, 1              // Non-Nan case: store lsb of bf16
v_add3_u32 v54, v[vgprValuC+97], v54, v57          // Non-Nan case: add lsb and the increment for rounding
v_cndmask_b32 v[vgprValuC+97], v54, v56, s[54:55]  // 
v_and_or_b32 v96, v[vgprValuC+97], v55, v[vgprValuC+96] // pack two bf16 to dword
s_lshl_b32  s54, s[sgprStrideD1J], 1               // incToNextRow: Scale by BPE
s_add_u32  s[sgprSrdD+0], s[sgprSrdD+0], s54       // incToNextRow: gra SRD += inc(lower)
s_addc_u32  s[sgprSrdD+1], s[sgprSrdD+1], 0        // incToNextRow: gra SRD += inc(upper)
	;; [unrolled: 14-line block ×3, first 2 shown]
_buffer_store_b32 v98, v58, s[sgprSrdD:sgprSrdD+3], 0, offen, offset:0,  sc1 // store D
v_cmp_u_f32 s[54:55], v[vgprValuC+100], v[vgprValuC+100] // check Nan
v_bfe_u32 v54, v[vgprValuC+100], 16, 1             // Non-Nan case: store lsb of bf16
v_add3_u32 v54, v[vgprValuC+100], v54, v57         // Non-Nan case: add lsb and the increment for rounding
v_cndmask_b32 v[vgprValuC+100], v54, v56, s[54:55] // 
v_lshrrev_b32 v[vgprValuC+100], 16, v[vgprValuC+100] // convert C to bf16
v_cmp_u_f32 s[54:55], v[vgprValuC+101], v[vgprValuC+101] // check Nan
v_bfe_u32 v54, v[vgprValuC+101], 16, 1             // Non-Nan case: store lsb of bf16
v_add3_u32 v54, v[vgprValuC+101], v54, v57         // Non-Nan case: add lsb and the increment for rounding
v_cndmask_b32 v[vgprValuC+101], v54, v56, s[54:55] // 
v_and_or_b32 v100, v[vgprValuC+101], v55, v[vgprValuC+100] // pack two bf16 to dword
s_mul_i32 s54, s[sgprStrideD1J], 58                // scale StrideD *= numRows(29) * bpe
s_add_u32  s[sgprSrdD+0], s[sgprSrdD+0], s54       // incToNextRow: gra SRD += inc(lower)
s_addc_u32  s[sgprSrdD+1], s[sgprSrdD+1], 0        // incToNextRow: gra SRD += inc(upper)
_buffer_store_b32 v100, v58, s[sgprSrdD:sgprSrdD+3], 0, offen, offset:0,  sc1 // store D
v_cmp_u_f32 s[54:55], v[vgprValuC+102], v[vgprValuC+102] // check Nan
v_bfe_u32 v54, v[vgprValuC+102], 16, 1             // Non-Nan case: store lsb of bf16
v_add3_u32 v54, v[vgprValuC+102], v54, v57         // Non-Nan case: add lsb and the increment for rounding
v_cndmask_b32 v[vgprValuC+102], v54, v56, s[54:55] // 
v_lshrrev_b32 v[vgprValuC+102], 16, v[vgprValuC+102] // convert C to bf16
v_cmp_u_f32 s[54:55], v[vgprValuC+103], v[vgprValuC+103] // check Nan
v_bfe_u32 v54, v[vgprValuC+103], 16, 1             // Non-Nan case: store lsb of bf16
v_add3_u32 v54, v[vgprValuC+103], v54, v57         // Non-Nan case: add lsb and the increment for rounding
v_cndmask_b32 v[vgprValuC+103], v54, v56, s[54:55] // 
v_and_or_b32 v102, v[vgprValuC+103], v55, v[vgprValuC+102] // pack two bf16 to dword
s_lshl_b32  s54, s[sgprStrideD1J], 1               // incToNextRow: Scale by BPE
s_add_u32  s[sgprSrdD+0], s[sgprSrdD+0], s54       // incToNextRow: gra SRD += inc(lower)
s_addc_u32  s[sgprSrdD+1], s[sgprSrdD+1], 0        // incToNextRow: gra SRD += inc(upper)
_buffer_store_b32 v102, v58, s[sgprSrdD:sgprSrdD+3], 0, offen, offset:0,  sc1 // store D
v_cmp_u_f32 s[54:55], v[vgprValuC+104], v[vgprValuC+104] // check Nan
v_bfe_u32 v54, v[vgprValuC+104], 16, 1             // Non-Nan case: store lsb of bf16
v_add3_u32 v54, v[vgprValuC+104], v54, v57         // Non-Nan case: add lsb and the increment for rounding
v_cndmask_b32 v[vgprValuC+104], v54, v56, s[54:55] // 
v_lshrrev_b32 v[vgprValuC+104], 16, v[vgprValuC+104] // convert C to bf16
v_cmp_u_f32 s[54:55], v[vgprValuC+105], v[vgprValuC+105] // check Nan
v_bfe_u32 v54, v[vgprValuC+105], 16, 1             // Non-Nan case: store lsb of bf16
v_add3_u32 v54, v[vgprValuC+105], v54, v57         // Non-Nan case: add lsb and the increment for rounding
v_cndmask_b32 v[vgprValuC+105], v54, v56, s[54:55] // 
v_and_or_b32 v104, v[vgprValuC+105], v55, v[vgprValuC+104] // pack two bf16 to dword
s_lshl_b32  s54, s[sgprStrideD1J], 1               // incToNextRow: Scale by BPE
	;; [unrolled: 14-line block ×3, first 2 shown]
s_add_u32  s[sgprSrdD+0], s[sgprSrdD+0], s54       // incToNextRow: gra SRD += inc(lower)
s_addc_u32  s[sgprSrdD+1], s[sgprSrdD+1], 0        // incToNextRow: gra SRD += inc(upper)
_buffer_store_b32 v106, v58, s[sgprSrdD:sgprSrdD+3], 0, offen, offset:0,  sc1 // store D
s_nop 0                                            // 1 wait state required when next inst writes vgprs held by previous dwordx4 store inst
s_branch label_GW_End_23                           // jump to end
label_GW_End_23:

s_endpgm                                           // Kernel End
OptNLL_End_17:


/******************************************/
/* Ord. NoLoadLoop - Begin                                      */
/******************************************/




/* iter 0 (last unrolled loop) */

/*  grEndMfmaIndex:0, lwStartMfmaIndex:33, lwEndMfmaIndex:33  */
/*  numMfmaForLR:11, barrierMfmaIndex:36, LocalWritePerMfma:3.120 */
/*  mfmaIndex:0  */
s_waitcnt lgkmcnt(0)                               // lgkmcnt=0 vmcnt=-1wait for prior local read local write old=0, new=0 newLW=0 newLR=0
/* pack scheduling: packAIdx:2, packBIdx:0 */
v_or_b32 v[vgprValuA_X0_I0+0], v[vgprValuA_X0_I0+0], v157 // pack two half Vgpr to one Vgpr
v_or_b32 v[vgprValuA_X0_I0+1], v[vgprValuA_X0_I0+1], v158 // pack two half Vgpr to one Vgpr
	;; [unrolled: 1-line block ×4, first 2 shown]
v_mfma_f32_16x16x16_bf16 v[0+0:3+0], v[vgprValuB_X0_I0+0+0+0:vgprValuB_X0_I0+0+0+0+1], v[vgprValuA_X0_I0+0+0+0:vgprValuA_X0_I0+0+0+0+1], v[0:3]
/*  mfmaIndex:1  */
_ds_load_u16 v[vgprValuA_X1_I0+0], v[vgprLocalReadAddrA] offset:512 // L -> Reg lro=256 swapByteOffset=0 ti=64 vIdx=0 rIdx=0 oIdx=0 buffer=1 iui=0
_ds_load_u16_d16_hi v161, v[vgprLocalReadAddrA] offset:640 // L -> Reg lro=256 swapByteOffset=0 ti=64 vIdx=0 rIdx=1 oIdx=0 buffer=1 iui=0
v_mfma_f32_16x16x16_bf16 v[4+0:7+0], v[vgprValuB_X0_I0+0+0+0:vgprValuB_X0_I0+0+0+0+1], v[vgprValuA_X0_I0+2+0+0:vgprValuA_X0_I0+2+0+0+1], v[4:7]
/*  mfmaIndex:2  */
_ds_load_u16 v[vgprValuA_X1_I0+1], v[vgprLocalReadAddrA] offset:768 // L -> Reg lro=256 swapByteOffset=0 ti=64 vIdx=0 rIdx=2 oIdx=0 buffer=1 iui=0
_ds_load_u16_d16_hi v162, v[vgprLocalReadAddrA] offset:896 // L -> Reg lro=256 swapByteOffset=0 ti=64 vIdx=0 rIdx=3 oIdx=0 buffer=1 iui=0
v_mfma_f32_16x16x16_bf16 v[12+0:15+0], v[vgprValuB_X0_I0+4+0+0:vgprValuB_X0_I0+4+0+0+1], v[vgprValuA_X0_I0+2+0+0:vgprValuA_X0_I0+2+0+0+1], v[12:15]
/*  mfmaIndex:3  */
_ds_load_b128 v[vgprValuB_X2_I0+0:vgprValuB_X2_I0+0+3], v[vgprLocalReadAddrB] offset:64 // L -> Reg lro=32 swapByteOffset=0 ti=32 vIdx=0 rIdx=0 oIdx=0 buffer=2 iui=0
_ds_load_u16 v[vgprValuA_X1_I0+2], v[vgprLocalReadAddrA] offset:514 // L -> Reg lro=256 swapByteOffset=0 ti=64 vIdx=0 rIdx=0 oIdx=0 buffer=1 iui=0
v_mfma_f32_16x16x16_bf16 v[8+0:11+0], v[vgprValuB_X0_I0+4+0+0:vgprValuB_X0_I0+4+0+0+1], v[vgprValuA_X0_I0+0+0+0:vgprValuA_X0_I0+0+0+0+1], v[8:11]
/*  mfmaIndex:4  */
_ds_load_u16_d16_hi v163, v[vgprLocalReadAddrA] offset:642 // L -> Reg lro=256 swapByteOffset=0 ti=64 vIdx=0 rIdx=1 oIdx=0 buffer=1 iui=0
v_mfma_f32_16x16x16_bf16 v[16+0:19+0], v[vgprValuB_X0_I0+8+0+0:vgprValuB_X0_I0+8+0+0+1], v[vgprValuA_X0_I0+0+0+0:vgprValuA_X0_I0+0+0+0+1], v[16:19]
/*  mfmaIndex:5  */
_ds_load_u16 v[vgprValuA_X1_I0+3], v[vgprLocalReadAddrA] offset:770 // L -> Reg lro=256 swapByteOffset=0 ti=64 vIdx=0 rIdx=2 oIdx=0 buffer=1 iui=0
v_mfma_f32_16x16x16_bf16 v[20+0:23+0], v[vgprValuB_X0_I0+8+0+0:vgprValuB_X0_I0+8+0+0+1], v[vgprValuA_X0_I0+2+0+0:vgprValuA_X0_I0+2+0+0+1], v[20:23]
/*  mfmaIndex:6  */
_ds_load_u16_d16_hi v164, v[vgprLocalReadAddrA] offset:898 // L -> Reg lro=256 swapByteOffset=0 ti=64 vIdx=0 rIdx=3 oIdx=0 buffer=1 iui=0
v_mfma_f32_16x16x16_bf16 v[28+0:31+0], v[vgprValuB_X0_I0+12+0+0:vgprValuB_X0_I0+12+0+0+1], v[vgprValuA_X0_I0+2+0+0:vgprValuA_X0_I0+2+0+0+1], v[28:31]
/*  mfmaIndex:7  */
_ds_load_b128 v[vgprValuB_X2_I0+4:vgprValuB_X2_I0+4+3], v[vgprLocalReadAddrB] offset:5184 // L -> Reg lro=32 swapByteOffset=0 ti=32 vIdx=1 rIdx=0 oIdx=0 buffer=2 iui=0
v_mfma_f32_16x16x16_bf16 v[24+0:27+0], v[vgprValuB_X0_I0+12+0+0:vgprValuB_X0_I0+12+0+0+1], v[vgprValuA_X0_I0+0+0+0:vgprValuA_X0_I0+0+0+0+1], v[24:27]
/*  mfmaIndex:8  */
_ds_load_b128 v[vgprValuB_X2_I0+8:vgprValuB_X2_I0+8+3], v[vgprLocalReadAddrB] offset:10304 // L -> Reg lro=32 swapByteOffset=0 ti=32 vIdx=2 rIdx=0 oIdx=0 buffer=2 iui=0
	;; [unrolled: 3-line block ×5, first 2 shown]
v_mfma_f32_16x16x16_bf16 v[40+0:43+0], v[vgprValuB_X0_I0+20+0+0:vgprValuB_X0_I0+20+0+0+1], v[vgprValuA_X0_I0+0+0+0:vgprValuA_X0_I0+0+0+0+1], v[40:43]
/* numPrefetchIter=0 */
/* dataAtIterA=-1 numReadsIterA=1 skipReadsIterA=1 readsPerIterA=8 */
/* dataAtIterB=-1 numReadsIterB=1 skipReadsIterB=1 readsPerIterB=6 */


/* iter 1 (last unrolled loop) */

/*  grEndMfmaIndex:0, lwStartMfmaIndex:33, lwEndMfmaIndex:33  */
/*  numMfmaForLR:11, barrierMfmaIndex:36, LocalWritePerMfma:3.120 */
/*  mfmaIndex:12  */
_ds_load_u16 v[vgprValuA_X2_I0+0], v[vgprLocalReadAddrA] offset:4352 // L -> Reg lro=2048 swapByteOffset=0 ti=64 vIdx=0 rIdx=0 oIdx=0 buffer=2 iui=0
s_waitcnt lgkmcnt(1)                               // lgkmcnt=0 vmcnt=-1wait for prior local read local write old=0, new=1 newLW=0 newLR=1
/* pack scheduling: packAIdx:2, packBIdx:0 */
v_or_b32 v[vgprValuA_X1_I0+0], v[vgprValuA_X1_I0+0], v161 // pack two half Vgpr to one Vgpr
v_or_b32 v[vgprValuA_X1_I0+1], v[vgprValuA_X1_I0+1], v162 // pack two half Vgpr to one Vgpr
	;; [unrolled: 1-line block ×4, first 2 shown]
v_mfma_f32_16x16x16_bf16 v[0+0:3+0], v[vgprValuB_X0_I0+0+2+0:vgprValuB_X0_I0+0+2+0+1], v[vgprValuA_X1_I0+0+0+0:vgprValuA_X1_I0+0+0+0+1], v[0:3]
/*  mfmaIndex:13  */
_ds_load_u16_d16_hi v157, v[vgprLocalReadAddrA] offset:4480 // L -> Reg lro=2048 swapByteOffset=0 ti=64 vIdx=0 rIdx=1 oIdx=0 buffer=2 iui=0
v_mfma_f32_16x16x16_bf16 v[4+0:7+0], v[vgprValuB_X0_I0+0+2+0:vgprValuB_X0_I0+0+2+0+1], v[vgprValuA_X1_I0+2+0+0:vgprValuA_X1_I0+2+0+0+1], v[4:7]
/*  mfmaIndex:14  */
_ds_load_u16 v[vgprValuA_X2_I0+1], v[vgprLocalReadAddrA] offset:4608 // L -> Reg lro=2048 swapByteOffset=0 ti=64 vIdx=0 rIdx=2 oIdx=0 buffer=2 iui=0
v_mfma_f32_16x16x16_bf16 v[12+0:15+0], v[vgprValuB_X0_I0+4+2+0:vgprValuB_X0_I0+4+2+0+1], v[vgprValuA_X1_I0+2+0+0:vgprValuA_X1_I0+2+0+0+1], v[12:15]
/*  mfmaIndex:15  */
_ds_load_u16_d16_hi v158, v[vgprLocalReadAddrA] offset:4736 // L -> Reg lro=2048 swapByteOffset=0 ti=64 vIdx=0 rIdx=3 oIdx=0 buffer=2 iui=0
v_mfma_f32_16x16x16_bf16 v[8+0:11+0], v[vgprValuB_X0_I0+4+2+0:vgprValuB_X0_I0+4+2+0+1], v[vgprValuA_X1_I0+0+0+0:vgprValuA_X1_I0+0+0+0+1], v[8:11]
/*  mfmaIndex:16  */
_ds_load_u16 v[vgprValuA_X2_I0+2], v[vgprLocalReadAddrA] offset:4354 // L -> Reg lro=2048 swapByteOffset=0 ti=64 vIdx=0 rIdx=0 oIdx=0 buffer=2 iui=0
	;; [unrolled: 6-line block ×3, first 2 shown]
v_mfma_f32_16x16x16_bf16 v[28+0:31+0], v[vgprValuB_X0_I0+12+2+0:vgprValuB_X0_I0+12+2+0+1], v[vgprValuA_X1_I0+2+0+0:vgprValuA_X1_I0+2+0+0+1], v[28:31]
/*  mfmaIndex:19  */
_ds_load_u16_d16_hi v160, v[vgprLocalReadAddrA] offset:4738 // L -> Reg lro=2048 swapByteOffset=0 ti=64 vIdx=0 rIdx=3 oIdx=0 buffer=2 iui=0
v_mfma_f32_16x16x16_bf16 v[24+0:27+0], v[vgprValuB_X0_I0+12+2+0:vgprValuB_X0_I0+12+2+0+1], v[vgprValuA_X1_I0+0+0+0:vgprValuA_X1_I0+0+0+0+1], v[24:27]
/*  mfmaIndex:20  */
/* localReadsVacancy: latencyLeft 2 */
_ds_load_u16 v[vgprValuA_X3_I0+0], v[vgprLocalReadAddrA] offset:4864 // L -> Reg lro=2304 swapByteOffset=0 ti=64 vIdx=0 rIdx=0 oIdx=0 buffer=3 iui=0
v_mfma_f32_16x16x16_bf16 v[32+0:35+0], v[vgprValuB_X0_I0+16+2+0:vgprValuB_X0_I0+16+2+0+1], v[vgprValuA_X1_I0+0+0+0:vgprValuA_X1_I0+0+0+0+1], v[32:35]
/*  mfmaIndex:21  */
/* localReadsVacancy: latencyLeft 2 */
_ds_load_u16 v[vgprValuA_X3_I0+1], v[vgprLocalReadAddrA] offset:5120 // L -> Reg lro=2304 swapByteOffset=0 ti=64 vIdx=0 rIdx=2 oIdx=0 buffer=3 iui=0
	;; [unrolled: 4-line block ×4, first 2 shown]
v_mfma_f32_16x16x16_bf16 v[40+0:43+0], v[vgprValuB_X0_I0+20+2+0:vgprValuB_X0_I0+20+2+0+1], v[vgprValuA_X1_I0+0+0+0:vgprValuA_X1_I0+0+0+0+1], v[40:43]
/* numPrefetchIter=0 */
/* dataAtIterA=0 numReadsIterA=2 skipReadsIterA=1 readsPerIterA=8 */
/* dataAtIterB=-1 numReadsIterB=1 skipReadsIterB=0 readsPerIterB=6 */


/* iter 2 (last unrolled loop) */

/*  grEndMfmaIndex:0, lwStartMfmaIndex:33, lwEndMfmaIndex:33  */
/*  numMfmaForLR:11, barrierMfmaIndex:36, LocalWritePerMfma:3.120 */
/*  mfmaIndex:24  */
_ds_load_u16_d16_hi v161, v[vgprLocalReadAddrA] offset:4992 // L -> Reg lro=2304 swapByteOffset=0 ti=64 vIdx=0 rIdx=1 oIdx=0 buffer=3 iui=0
s_waitcnt lgkmcnt(5)                               // lgkmcnt=0 vmcnt=-1wait for prior local read local write old=4, new=5 newLW=0 newLR=1
/* pack scheduling: packAIdx:2, packBIdx:0 */
v_or_b32 v[vgprValuA_X2_I0+0], v[vgprValuA_X2_I0+0], v157 // pack two half Vgpr to one Vgpr
v_or_b32 v[vgprValuA_X2_I0+1], v[vgprValuA_X2_I0+1], v158 // pack two half Vgpr to one Vgpr
	;; [unrolled: 1-line block ×4, first 2 shown]
v_mfma_f32_16x16x16_bf16 v[0+0:3+0], v[vgprValuB_X2_I0+0+0+0:vgprValuB_X2_I0+0+0+0+1], v[vgprValuA_X2_I0+0+0+0:vgprValuA_X2_I0+0+0+0+1], v[0:3]
/*  mfmaIndex:25  */
_ds_load_u16_d16_hi v162, v[vgprLocalReadAddrA] offset:5248 // L -> Reg lro=2304 swapByteOffset=0 ti=64 vIdx=0 rIdx=3 oIdx=0 buffer=3 iui=0
v_mfma_f32_16x16x16_bf16 v[4+0:7+0], v[vgprValuB_X2_I0+0+0+0:vgprValuB_X2_I0+0+0+0+1], v[vgprValuA_X2_I0+2+0+0:vgprValuA_X2_I0+2+0+0+1], v[4:7]
/*  mfmaIndex:26  */
_ds_load_u16_d16_hi v163, v[vgprLocalReadAddrA] offset:4994 // L -> Reg lro=2304 swapByteOffset=0 ti=64 vIdx=0 rIdx=1 oIdx=0 buffer=3 iui=0
	;; [unrolled: 3-line block ×3, first 2 shown]
v_mfma_f32_16x16x16_bf16 v[8+0:11+0], v[vgprValuB_X2_I0+4+0+0:vgprValuB_X2_I0+4+0+0+1], v[vgprValuA_X2_I0+0+0+0:vgprValuA_X2_I0+0+0+0+1], v[8:11]
/*  mfmaIndex:28  */
/* localReadsVacancy: latencyLeft 2 */
v_mfma_f32_16x16x16_bf16 v[16+0:19+0], v[vgprValuB_X2_I0+8+0+0:vgprValuB_X2_I0+8+0+0+1], v[vgprValuA_X2_I0+0+0+0:vgprValuA_X2_I0+0+0+0+1], v[16:19]
/*  mfmaIndex:29  */
/* localReadsVacancy: latencyLeft 2 */
	;; [unrolled: 3-line block ×5, first 2 shown]
/* 1 LDS buffer: read-sync-write */
s_waitcnt lgkmcnt(0)                               // 
s_barrier                                          // 
v_mfma_f32_16x16x16_bf16 v[32+0:35+0], v[vgprValuB_X2_I0+16+0+0:vgprValuB_X2_I0+16+0+0+1], v[vgprValuA_X2_I0+0+0+0:vgprValuA_X2_I0+0+0+0+1], v[32:35]
/*  mfmaIndex:33  */
/* localReadsVacancy: latencyLeft 2 */
s_setprio 3                                        // store optimization
v_mfma_f32_16x16x16_bf16 v[36+0:39+0], v[vgprValuB_X2_I0+16+0+0:vgprValuB_X2_I0+16+0+0+1], v[vgprValuA_X2_I0+2+0+0:vgprValuA_X2_I0+2+0+0+1], v[36:39]
/*  mfmaIndex:34  */
v_mfma_f32_16x16x16_bf16 v[44+0:47+0], v[vgprValuB_X2_I0+20+0+0:vgprValuB_X2_I0+20+0+0+1], v[vgprValuA_X2_I0+2+0+0:vgprValuA_X2_I0+2+0+0+1], v[44:47]
/*  mfmaIndex:35  */
v_mfma_f32_16x16x16_bf16 v[40+0:43+0], v[vgprValuB_X2_I0+20+0+0:vgprValuB_X2_I0+20+0+0+1], v[vgprValuA_X2_I0+0+0+0:vgprValuA_X2_I0+0+0+0+1], v[40:43]
s_setprio 0                                        // store optimization
/* numPrefetchIter=0 */
/* dataAtIterA=1 numReadsIterA=3 skipReadsIterA=1 readsPerIterA=8 */
/* dataAtIterB=0 numReadsIterB=1 skipReadsIterB=0 readsPerIterB=6 */


/* iter 3 (last unrolled loop) */

/*  grEndMfmaIndex:0, lwStartMfmaIndex:33, lwEndMfmaIndex:33  */
/*  numMfmaForLR:11, barrierMfmaIndex:36, LocalWritePerMfma:3.120 */
/*  mfmaIndex:36  */
/* pack scheduling: packAIdx:2, packBIdx:0 */
v_or_b32 v[vgprValuA_X3_I0+0], v[vgprValuA_X3_I0+0], v161 // pack two half Vgpr to one Vgpr
v_or_b32 v[vgprValuA_X3_I0+1], v[vgprValuA_X3_I0+1], v162 // pack two half Vgpr to one Vgpr
	;; [unrolled: 1-line block ×4, first 2 shown]
v_mfma_f32_16x16x16_bf16 v[0+0:3+0], v[vgprValuB_X2_I0+0+2+0:vgprValuB_X2_I0+0+2+0+1], v[vgprValuA_X3_I0+0+0+0:vgprValuA_X3_I0+0+0+0+1], v[0:3]
/*  mfmaIndex:37  */
s_setprio 3                                        // store optimization
v_mfma_f32_16x16x16_bf16 v[4+0:7+0], v[vgprValuB_X2_I0+0+2+0:vgprValuB_X2_I0+0+2+0+1], v[vgprValuA_X3_I0+2+0+0:vgprValuA_X3_I0+2+0+0+1], v[4:7]
/*  mfmaIndex:38  */
v_mfma_f32_16x16x16_bf16 v[12+0:15+0], v[vgprValuB_X2_I0+4+2+0:vgprValuB_X2_I0+4+2+0+1], v[vgprValuA_X3_I0+2+0+0:vgprValuA_X3_I0+2+0+0+1], v[12:15]
/*  mfmaIndex:39  */
	;; [unrolled: 2-line block ×10, first 2 shown]
v_mfma_f32_16x16x16_bf16 v[40+0:43+0], v[vgprValuB_X2_I0+20+2+0:vgprValuB_X2_I0+20+2+0+1], v[vgprValuA_X3_I0+0+0+0:vgprValuA_X3_I0+0+0+0+1], v[40:43]

PrefetchGlobalLastIterEnd_5:


/******************************************/
/* Tail Loop                              */
/******************************************/


/* local write reset offsets a */


	;; [unrolled: 1-line block ×4, first 2 shown]
/* local write reset offsets b */


	;; [unrolled: 1-line block ×4, first 2 shown]
//numIterL = (((sizeL % LOCAL_DEPTHU) + LOCAL_SPLITU - 1) / LOCAL_SPLITU)
s_and_b32 s[sgprLoopCounterL], 63, s[sgprSizesSum+0] // s[sgprLoopCounterL] = s[sgprSizesSum+0] % 64
s_cmp_eq_u32 s[sgprLoopCounterL], 0x0              // numIterL == 0
s_cbranch_scc1 SkipTailLoopL_8                     // skip to end of tail loop b/c numIter==0
s_mov_b32 s[sgprOrigLoopCounter], 0                // repurpose to count each localRead increment


/* remove stagger offsets for tail loop */

s_mov_b32 s58, 3                                   // 
s_mul_hi_u32 s57, s58, s[sgprGlobalReadIncsA+0]    // 3 * GlobalReadIncs
s_mul_i32 s56, s58, s[sgprGlobalReadIncsA+0]       // 3 * GlobalReadIncs
s_mul_hi_u32 s59, s[sgprStaggerUIter], s[sgprGlobalReadIncsA+0] // StaggerUIter * GlobalReadIncs
s_mul_i32 s58, s[sgprStaggerUIter], s[sgprGlobalReadIncsA+0] // StaggerUIter * GlobalReadIncs
s_sub_u32 s56, s56, s58                            // start offset S in bytes
s_subb_u32 s57, s57, s59                           // start offset S in bytes
s_sub_u32 s56, s56, s[sgprWrapUA]                  // S - WrapU
s_subb_u32 s57, s57, s[sgprWrapUA+1]               // S - WrapU
s_add_u32 s[sgprSrdA+0], s[sgprSrdA+0], s56        // gra SRD += inc(lower)
s_addc_u32  s[sgprSrdA+1], s[sgprSrdA+1], s57      // gra SRD += inc(upper)
s_sub_u32 s[sgprShadowLimitA+0], s[sgprShadowLimitA+0], s56 // limit -= inc)
s_subb_u32 s[sgprShadowLimitA+1], s[sgprShadowLimitA+1], s57 // limit -= inc)
s_cmp_eq_u32 s[sgprShadowLimitA+1], 0              // are we within 2^32?
s_cselect_b32 s[sgprSrdA+2], s[sgprShadowLimitA+0], BufferLimitA // Move shadow to real if we are within 2^32

s_mov_b32 s58, 3                                   // 
s_mul_hi_u32 s57, s58, s[sgprGlobalReadIncsB+0]    // 3 * GlobalReadIncs
s_mul_i32 s56, s58, s[sgprGlobalReadIncsB+0]       // 3 * GlobalReadIncs
s_mul_hi_u32 s59, s[sgprStaggerUIter], s[sgprGlobalReadIncsB+0] // StaggerUIter * GlobalReadIncs
s_mul_i32 s58, s[sgprStaggerUIter], s[sgprGlobalReadIncsB+0] // StaggerUIter * GlobalReadIncs
s_sub_u32 s56, s56, s58                            // start offset S in bytes
s_subb_u32 s57, s57, s59                           // start offset S in bytes
s_sub_u32 s56, s56, s[sgprWrapUB]                  // S - WrapU
s_subb_u32 s57, s57, s[sgprWrapUB+1]               // S - WrapU
s_add_u32 s[sgprSrdB+0], s[sgprSrdB+0], s56        // gra SRD += inc(lower)
s_addc_u32  s[sgprSrdB+1], s[sgprSrdB+1], s57      // gra SRD += inc(upper)
s_sub_u32 s[sgprShadowLimitB+0], s[sgprShadowLimitB+0], s56 // limit -= inc)
s_subb_u32 s[sgprShadowLimitB+1], s[sgprShadowLimitB+1], s57 // limit -= inc)
s_cmp_eq_u32 s[sgprShadowLimitB+1], 0              // are we within 2^32?
s_cselect_b32 s[sgprSrdB+2], s[sgprShadowLimitB+0], BufferLimitB // Move shadow to real if we are within 2^32


/* Update M0 for DTLDS */


	;; [unrolled: 1-line block ×3, first 2 shown]
/* global read a */

/* g2l=0, load component 0 */
_buffer_load_d16_b16 v[vgprG2LA+0+0], v[vgprGlobalReadOffsetA+0], s[sgprSrdA:sgprSrdA+3], 0, offen offset:0 // load one buffer value
/* g2l=0, load component 1 */
_buffer_load_d16_hi_b16 v157, v[vgprGlobalReadOffsetA+0], s[sgprSrdA:sgprSrdA+3], 0, offen offset:2 // load one buffer value
s_waitcnt vmcnt(0)
v_or_b32 v[vgprG2LA+0+0], v[vgprG2LA+0+0], v157 // HasEccHalf: pack
/* g2l=0, load component 2 */
_buffer_load_d16_b16 v[vgprG2LA+0+1], v[vgprGlobalReadOffsetA+0], s[sgprSrdA:sgprSrdA+3], 0, offen offset:4 // load one buffer value
/* g2l=0, load component 3 */
_buffer_load_d16_hi_b16 v157, v[vgprGlobalReadOffsetA+0], s[sgprSrdA:sgprSrdA+3], 0, offen offset:6 // load one buffer value
s_waitcnt vmcnt(0)
v_or_b32 v[vgprG2LA+0+1], v[vgprG2LA+0+1], v157 // HasEccHalf: pack
	;; [unrolled: 6-line block ×8, first 2 shown]


/* Update M0 for DTLDS */


	;; [unrolled: 1-line block ×3, first 2 shown]
/* global read b */

/* g2l=0, load component 0 */
_buffer_load_d16_b16 v[vgprG2LB+0+0], v[vgprGlobalReadOffsetB+0], s[sgprSrdB:sgprSrdB+3], 0, offen offset:0 // load one buffer value
/* g2l=0, load component 1 */
_buffer_load_d16_hi_b16 v157, v[vgprGlobalReadOffsetB+0], s[sgprSrdB:sgprSrdB+3], 0, offen offset:2 // load one buffer value
s_waitcnt vmcnt(0)
v_or_b32 v[vgprG2LB+0+0], v[vgprG2LB+0+0], v157 // HasEccHalf: pack
/* g2l=0, load component 2 */
_buffer_load_d16_b16 v[vgprG2LB+0+1], v[vgprGlobalReadOffsetB+0], s[sgprSrdB:sgprSrdB+3], 0, offen offset:4 // load one buffer value
/* g2l=0, load component 3 */
_buffer_load_d16_hi_b16 v157, v[vgprGlobalReadOffsetB+0], s[sgprSrdB:sgprSrdB+3], 0, offen offset:6 // load one buffer value
s_waitcnt vmcnt(0)
v_or_b32 v[vgprG2LB+0+1], v[vgprG2LB+0+1], v157 // HasEccHalf: pack
	;; [unrolled: 6-line block ×24, first 2 shown]

s_waitcnt vmcnt(0)                                 // lgkmcnt=-1 vmcnt=02wait for global read

// Skip force waitcnt0
s_barrier //


/* Done global A/B reads */


	;; [unrolled: 1-line block ×4, first 2 shown]
/* local write a */

_ds_store_b128 v[vgprLocalWriteAddrA], v[vgprG2LA+0:vgprG2LA+0+3] offset:0 // lwoA_0_0_0_0 = (0*LSCA) + (0*LSPA)(*MT0I+PAD) = 0
_ds_store_b128 v[vgprLocalWriteAddrA], v[vgprG2LA+4:vgprG2LA+4+3] offset:4352 // lwoA_0_0_1_0 = (0*LSCA) + (1*LSPA)(*MT0I+PAD) = 4352


/* local write b */

_ds_store_b128 v[vgprLocalWriteAddrB], v[vgprG2LB+0:vgprG2LB+0+3] offset:0 // lwoB_0_0_0_0 = (0*LSCB)*(MT1J+PAD) + (0*LSPB) = 0
_ds_store_b128 v[vgprLocalWriteAddrB], v[vgprG2LB+4:vgprG2LB+4+3] offset:5120 // lwoB_0_0_1_0 = (0*LSCB)*(MT1J+PAD) + (1*LSPB) = 5120
_ds_store_b128 v[vgprLocalWriteAddrB], v[vgprG2LB+8:vgprG2LB+8+3] offset:10240 // lwoB_0_0_2_0 = (0*LSCB)*(MT1J+PAD) + (2*LSPB) = 10240
_ds_store_b128 v[vgprLocalWriteAddrB], v[vgprG2LB+12:vgprG2LB+12+3] offset:15360 // lwoB_0_0_3_0 = (0*LSCB)*(MT1J+PAD) + (3*LSPB) = 15360
_ds_store_b128 v[vgprLocalWriteAddrB], v[vgprG2LB+16:vgprG2LB+16+3] offset:20480 // lwoB_0_0_4_0 = (0*LSCB)*(MT1J+PAD) + (4*LSPB) = 20480
_ds_store_b128 v[vgprLocalWriteAddrB], v[vgprG2LB+20:vgprG2LB+20+3] offset:25600 // lwoB_0_0_5_0 = (0*LSCB)*(MT1J+PAD) + (5*LSPB) = 25600


/* Recalc local read offsets */

/*lr0I*/
v_and_b32 v158, 63, v[vgprSerial]                  // 0. thread id in wave: wtid = tid % wavelength(64)
v_and_b32 v157, 15, v158                           // 1. N offset: nIdx = wtid % MI_N(16)
                                                   // 1. N offset: nOffset = nIdx * nStride(1) (multiplier is 1, do nothing)
                                                   // 2. block offset: bnIdx = bnIdx % num1DBlocks(1) is 0. do nothing
v_lshlrev_b32 v157, 0x1, v157                      // 4. apply VectorWidth: bnOffset = bnOffset * vw(2)
v_lshrrev_b32 v158, 4, v158                        // 5. K offset: kIdx = wtid / (MIN(16) * MIBB(1))
v_lshlrev_b32 v158, 0x8, v158                      // 5. K offset: lrKOffset = kIdx * mStride(256)
_v_add_u32 v157, v158, v157                        // 6. offset in wave: lrOffset = bnOffset + lrKOffset
v_lshrrev_b32 v159, 6, v[vgprSerial]               // 7. wave offset in N dimen: wtid = tid / dividedForWaveId(64)
v_and_b32 v158, 1, v159                            // 7. wave offset in M dimen: wtid0 = wtid / num1DWaves(2)
v_lshlrev_b32 v158, 0x5, v158                      // 7. wave offset in M dimen: wOffset = wtid0 * W0Stride(32)
_v_add_u32 v157, v158, v157                        // 8. final local read offset: flrOffset = lrOffset + WOffset
/*lr1J*/
v_and_b32 v159, 63, v[vgprSerial]                  // 0. thread id in wave: wtid = tid % wavelength(64)
v_and_b32 v158, 15, v159                           // 1. N offset: nIdx = wtid % MI_N(16)
v_lshlrev_b32 v158, 0x6, v158                      // 1. N offset: nOffset = nIdx * nStride(64)
                                                   // 2. block offset: bnIdx = bnIdx % num1DBlocks(1) is 0. do nothing
                                                   // 4. apply VectorWidth: bnOffset = bnOffset * vw(1) (multiplier is 1, do nothing)
v_lshrrev_b32 v159, 4, v159                        // 5. K offset: kIdx = wtid / (MIN(16) * MIBB(1))
v_lshlrev_b32 v159, 0x2, v159                      // 5. K offset: lrKOffset = kIdx * mStride(4)
_v_add_u32 v158, v159, v158                        // 6. offset in wave: lrOffset = bnOffset + lrKOffset
v_lshrrev_b32 v160, 7, v[vgprSerial]               // 7. wave offset in N dimen: wtid = tid / dividedForWaveId(128)
v_and_b32 v159, 1, v160                            // 7. wave offset in M dimen: wtid0 = wtid / num1DWaves(2)
v_lshlrev_b32 v159, 0xa, v159                      // 7. wave offset in M dimen: wOffset = wtid0 * W0Stride(1024)
_v_add_u32 v158, v159, v158                        // 8. final local read offset: flrOffset = lrOffset + WOffset
v_lshlrev_b32 v[vgprLocalReadAddrA], 0x1, v157     // Final Offset: offset = (lro0)*bpe
v_lshrrev_b32 v157, 10, v[vgprLocalReadAddrA]      // Final Offset: padding 32 per block 1024
v_lshlrev_b32 v157, 0x6, v157                      // Final Offset: padding 32 per block 1024
_v_add_u32 v[vgprLocalReadAddrA], v157, v[vgprLocalReadAddrA] // Final Offset: add padding 32 per block 1024
/* N/A */
v_lshlrev_b32 v[vgprLocalReadAddrB], 0x1, v158     // Final Offset: offset = (lro1)*bpe
v_lshrrev_b32 v157, 7, v[vgprLocalReadAddrB]       // Final Offset: padding 16 per block 128
v_lshlrev_b32 v157, 0x5, v157                      // Final Offset: padding 16 per block 128
_v_add_u32 v[vgprLocalReadAddrB], v157, v[vgprLocalReadAddrB] // Final Offset: add padding 16 per block 128
_v_add_co_u32 v[vgprLocalReadAddrB+0], vcc, 0x2200, v[vgprLocalReadAddrB+0] //  += LdsOffsetB (lower)

s_waitcnt lgkmcnt(0)                               // lgkmcnt=0 vmcnt=-15wait for local write

// Skip force waitcnt0
s_barrier //


/* local read reset offsets a */


	;; [unrolled: 1-line block ×3, first 2 shown]
/* local read reset offsets b */


	;; [unrolled: 1-line block ×3, first 2 shown]
/* local read init pointers a */


/* localReadInitPointers */


/* local read init pointers b */


/* localReadInitPointers */


/* tail loop: macs */

TailLoopBeginL_6:


/* tail loop unroll iter 0 */


/* local read a */

_ds_load_u16 v[vgprValuA_X0_I0+0], v[vgprLocalReadAddrA] offset:0 // L -> Reg lro=0 swapByteOffset=0 ti=64 vIdx=0 rIdx=0 oIdx=0 buffer=0 iui=0
_ds_load_u16_d16_hi v157, v[vgprLocalReadAddrA] offset:128 // L -> Reg lro=0 swapByteOffset=0 ti=64 vIdx=0 rIdx=1 oIdx=0 buffer=0 iui=0
_ds_load_u16 v[vgprValuA_X0_I0+1], v[vgprLocalReadAddrA] offset:256 // L -> Reg lro=0 swapByteOffset=0 ti=64 vIdx=0 rIdx=2 oIdx=0 buffer=0 iui=0
_ds_load_u16_d16_hi v158, v[vgprLocalReadAddrA] offset:384 // L -> Reg lro=0 swapByteOffset=0 ti=64 vIdx=0 rIdx=3 oIdx=0 buffer=0 iui=0
	;; [unrolled: 2-line block ×4, first 2 shown]


/* local read b */

_ds_load_b64 v[vgprValuB_X0_I0+0:vgprValuB_X0_I0+0+1], v[vgprLocalReadAddrB] offset:0 // L -> Reg lro=0 swapByteOffset=0 ti=32 vIdx=0 rIdx=0 oIdx=0 buffer=0 iui=0
_ds_load_b64 v[vgprValuB_X0_I0+2:vgprValuB_X0_I0+2+1], v[vgprLocalReadAddrB] offset:5120 // L -> Reg lro=0 swapByteOffset=0 ti=32 vIdx=1 rIdx=0 oIdx=0 buffer=0 iui=0
	;; [unrolled: 1-line block ×6, first 2 shown]


/* local read inc a */

s_mov_b32 s56, 0x880                               // inc
_v_add_co_u32 v[vgprLocalReadAddrA], vcc, s56, v[vgprLocalReadAddrA] // lrA += 2176 (LSU*(MT+PAD)*bpe)


/* local read inc b */

s_mov_b32 s56, 0x20                                // inc
_v_add_co_u32 v[vgprLocalReadAddrB], vcc, s56, v[vgprLocalReadAddrB] // lrB += 32 (LSU*bpe)

s_waitcnt lgkmcnt(0)                               // lgkmcnt=0 vmcnt=-14wait for local read

v_or_b32 v[vgprValuA_X0_I0+0], v[vgprValuA_X0_I0+0], v157 // pack two half Vgpr to one Vgpr
v_or_b32 v[vgprValuA_X0_I0+1], v[vgprValuA_X0_I0+1], v158 // pack two half Vgpr to one Vgpr
v_or_b32 v[vgprValuA_X0_I0+2], v[vgprValuA_X0_I0+2], v159 // pack two half Vgpr to one Vgpr
v_or_b32 v[vgprValuA_X0_I0+3], v[vgprValuA_X0_I0+3], v160 // pack two half Vgpr to one Vgpr


/* tail loop mfma iter 0: numReadsIterCoalescedA=1, numReadsIterCoalescedB=1 */
v_and_b32 v157, 63, v[vgprSerial]                  // v157 = v[vgprSerial] % 64
v_lshrrev_b32 v157, 4, v157                        // v157 = v157 / 16
v_lshlrev_b32 v157, 0x2, v157                      // v157 = v157 * 4
v_cmp_ge_i32 s[56:57], v157, s[sgprLoopCounterL]   // check K index >= Size L
v_cndmask_b32 v[vgprValuB_X0_I0+0+0+0+0], v[vgprValuB_X0_I0+0+0+0+0], 0x0, s[56:57] // set 0 if K_idx >= sizeL
v_cndmask_b32 v[vgprValuB_X0_I0+2+0+0+0], v[vgprValuB_X0_I0+2+0+0+0], 0x0, s[56:57] // set 0 if K_idx >= sizeL
	;; [unrolled: 1-line block ×12, first 2 shown]
_v_sub_u32 v157, s[sgprLoopCounterL], v157         // get distance between size and k index
v_cmp_lt_i32 s[56:57], v157, 4                     // set partial 0 if distance less than input per thread
s_and_b32 s58, s[sgprLoopCounterL], 3              // get inputs for edge thread
s_sub_u32 s58, 4, s58                              // use shift to fill 0 for outside element
s_lshl_b32 s58, s58, 4                             // use shift to fill 0 for outside element
v_mov_b32 v158, -1                                 // set 0xffffffff
v_mov_b32 v159, -1                                 // set 0xffffffff
v_lshrrev_b64 v[158:159], s58, v[158:159]          // rshift mask for partial k
v_cndmask_b32 v158, -1, v158, s[56:57]             // select shifted mask for partial k
v_cndmask_b32 v159, -1, v159, s[56:57]             // select shifted mask for partial k
v_and_b32 v[vgprValuB_X0_I0+0+0+0+0], v[vgprValuB_X0_I0+0+0+0+0], v158 // 
v_and_b32 v[vgprValuB_X0_I0+0+0+0+1], v[vgprValuB_X0_I0+0+0+0+1], v159 // 
	;; [unrolled: 1-line block ×12, first 2 shown]
s_nop 1
v_mfma_f32_16x16x16_bf16 v[0+0:3+0], v[vgprValuB_X0_I0+0+0+0:vgprValuB_X0_I0+0+0+0+1], v[vgprValuA_X0_I0+0+0+0:vgprValuA_X0_I0+0+0+0+1], v[0:3]
v_mfma_f32_16x16x16_bf16 v[4+0:7+0], v[vgprValuB_X0_I0+0+0+0:vgprValuB_X0_I0+0+0+0+1], v[vgprValuA_X0_I0+2+0+0:vgprValuA_X0_I0+2+0+0+1], v[4:7]
v_mfma_f32_16x16x16_bf16 v[12+0:15+0], v[vgprValuB_X0_I0+2+0+0:vgprValuB_X0_I0+2+0+0+1], v[vgprValuA_X0_I0+2+0+0:vgprValuA_X0_I0+2+0+0+1], v[12:15]
v_mfma_f32_16x16x16_bf16 v[8+0:11+0], v[vgprValuB_X0_I0+2+0+0:vgprValuB_X0_I0+2+0+0+1], v[vgprValuA_X0_I0+0+0+0:vgprValuA_X0_I0+0+0+0+1], v[8:11]
v_mfma_f32_16x16x16_bf16 v[16+0:19+0], v[vgprValuB_X0_I0+4+0+0:vgprValuB_X0_I0+4+0+0+1], v[vgprValuA_X0_I0+0+0+0:vgprValuA_X0_I0+0+0+0+1], v[16:19]
v_mfma_f32_16x16x16_bf16 v[20+0:23+0], v[vgprValuB_X0_I0+4+0+0:vgprValuB_X0_I0+4+0+0+1], v[vgprValuA_X0_I0+2+0+0:vgprValuA_X0_I0+2+0+0+1], v[20:23]
v_mfma_f32_16x16x16_bf16 v[28+0:31+0], v[vgprValuB_X0_I0+6+0+0:vgprValuB_X0_I0+6+0+0+1], v[vgprValuA_X0_I0+2+0+0:vgprValuA_X0_I0+2+0+0+1], v[28:31]
v_mfma_f32_16x16x16_bf16 v[24+0:27+0], v[vgprValuB_X0_I0+6+0+0:vgprValuB_X0_I0+6+0+0+1], v[vgprValuA_X0_I0+0+0+0:vgprValuA_X0_I0+0+0+0+1], v[24:27]
v_mfma_f32_16x16x16_bf16 v[32+0:35+0], v[vgprValuB_X0_I0+8+0+0:vgprValuB_X0_I0+8+0+0+1], v[vgprValuA_X0_I0+0+0+0:vgprValuA_X0_I0+0+0+0+1], v[32:35]
v_mfma_f32_16x16x16_bf16 v[36+0:39+0], v[vgprValuB_X0_I0+8+0+0:vgprValuB_X0_I0+8+0+0+1], v[vgprValuA_X0_I0+2+0+0:vgprValuA_X0_I0+2+0+0+1], v[36:39]
v_mfma_f32_16x16x16_bf16 v[44+0:47+0], v[vgprValuB_X0_I0+10+0+0:vgprValuB_X0_I0+10+0+0+1], v[vgprValuA_X0_I0+2+0+0:vgprValuA_X0_I0+2+0+0+1], v[44:47]
v_mfma_f32_16x16x16_bf16 v[40+0:43+0], v[vgprValuB_X0_I0+10+0+0:vgprValuB_X0_I0+10+0+0+1], v[vgprValuA_X0_I0+0+0+0:vgprValuA_X0_I0+0+0+0+1], v[40:43]


/* closeLoop loopL finalLoop=0 tailLoop=1 */
s_sub_i32 s[sgprLoopCounterL], s[sgprLoopCounterL], 0x10 // dec counterL (tailLoop)
s_add_u32 s[sgprOrigLoopCounter], s[sgprOrigLoopCounter], 0x10 // inc counterL
s_cmp_le_i32 s[sgprLoopCounterL], 0x0              // counterL<=0
s_cbranch_scc1 TailLoopEndL_7                      // exit LoopL


/* tail loop unroll iter 1 */


/* local read a */

_ds_load_u16 v[vgprValuA_X1_I0+0], v[vgprLocalReadAddrA] offset:0 // L -> Reg lro=0 swapByteOffset=0 ti=64 vIdx=0 rIdx=0 oIdx=0 buffer=1 iui=0
_ds_load_u16_d16_hi v157, v[vgprLocalReadAddrA] offset:128 // L -> Reg lro=0 swapByteOffset=0 ti=64 vIdx=0 rIdx=1 oIdx=0 buffer=1 iui=0
_ds_load_u16 v[vgprValuA_X1_I0+1], v[vgprLocalReadAddrA] offset:256 // L -> Reg lro=0 swapByteOffset=0 ti=64 vIdx=0 rIdx=2 oIdx=0 buffer=1 iui=0
_ds_load_u16_d16_hi v158, v[vgprLocalReadAddrA] offset:384 // L -> Reg lro=0 swapByteOffset=0 ti=64 vIdx=0 rIdx=3 oIdx=0 buffer=1 iui=0
	;; [unrolled: 2-line block ×4, first 2 shown]


/* local read b */

_ds_load_b64 v[vgprValuB_X1_I0+0:vgprValuB_X1_I0+0+1], v[vgprLocalReadAddrB] offset:0 // L -> Reg lro=0 swapByteOffset=0 ti=32 vIdx=0 rIdx=0 oIdx=0 buffer=1 iui=0
_ds_load_b64 v[vgprValuB_X1_I0+2:vgprValuB_X1_I0+2+1], v[vgprLocalReadAddrB] offset:5120 // L -> Reg lro=0 swapByteOffset=0 ti=32 vIdx=1 rIdx=0 oIdx=0 buffer=1 iui=0
	;; [unrolled: 1-line block ×6, first 2 shown]


/* local read inc a */

s_mov_b32 s56, 0x880                               // inc
_v_add_co_u32 v[vgprLocalReadAddrA], vcc, s56, v[vgprLocalReadAddrA] // lrA += 2176 (LSU*(MT+PAD)*bpe)


/* local read inc b */

s_mov_b32 s56, 0x20                                // inc
_v_add_co_u32 v[vgprLocalReadAddrB], vcc, s56, v[vgprLocalReadAddrB] // lrB += 32 (LSU*bpe)

s_waitcnt lgkmcnt(0)                               // lgkmcnt=0 vmcnt=-14wait for local read

v_or_b32 v[vgprValuA_X1_I0+0], v[vgprValuA_X1_I0+0], v157 // pack two half Vgpr to one Vgpr
v_or_b32 v[vgprValuA_X1_I0+1], v[vgprValuA_X1_I0+1], v158 // pack two half Vgpr to one Vgpr
	;; [unrolled: 1-line block ×4, first 2 shown]


/* tail loop mfma iter 1: numReadsIterCoalescedA=1, numReadsIterCoalescedB=1 */
v_and_b32 v157, 63, v[vgprSerial]                  // v157 = v[vgprSerial] % 64
v_lshrrev_b32 v157, 4, v157                        // v157 = v157 / 16
v_lshlrev_b32 v157, 0x2, v157                      // v157 = v157 * 4
v_cmp_ge_i32 s[56:57], v157, s[sgprLoopCounterL]   // check K index >= Size L
v_cndmask_b32 v[vgprValuB_X1_I0+0+0+0+0], v[vgprValuB_X1_I0+0+0+0+0], 0x0, s[56:57] // set 0 if K_idx >= sizeL
v_cndmask_b32 v[vgprValuB_X1_I0+2+0+0+0], v[vgprValuB_X1_I0+2+0+0+0], 0x0, s[56:57] // set 0 if K_idx >= sizeL
	;; [unrolled: 1-line block ×12, first 2 shown]
_v_sub_u32 v157, s[sgprLoopCounterL], v157         // get distance between size and k index
v_cmp_lt_i32 s[56:57], v157, 4                     // set partial 0 if distance less than input per thread
s_and_b32 s58, s[sgprLoopCounterL], 3              // get inputs for edge thread
s_sub_u32 s58, 4, s58                              // use shift to fill 0 for outside element
s_lshl_b32 s58, s58, 4                             // use shift to fill 0 for outside element
v_mov_b32 v158, -1                                 // set 0xffffffff
v_mov_b32 v159, -1                                 // set 0xffffffff
v_lshrrev_b64 v[158:159], s58, v[158:159]          // rshift mask for partial k
v_cndmask_b32 v158, -1, v158, s[56:57]             // select shifted mask for partial k
v_cndmask_b32 v159, -1, v159, s[56:57]             // select shifted mask for partial k
v_and_b32 v[vgprValuB_X1_I0+0+0+0+0], v[vgprValuB_X1_I0+0+0+0+0], v158 // 
v_and_b32 v[vgprValuB_X1_I0+0+0+0+1], v[vgprValuB_X1_I0+0+0+0+1], v159 // 
	;; [unrolled: 1-line block ×12, first 2 shown]
s_nop 1
v_mfma_f32_16x16x16_bf16 v[0+0:3+0], v[vgprValuB_X1_I0+0+0+0:vgprValuB_X1_I0+0+0+0+1], v[vgprValuA_X1_I0+0+0+0:vgprValuA_X1_I0+0+0+0+1], v[0:3]
v_mfma_f32_16x16x16_bf16 v[4+0:7+0], v[vgprValuB_X1_I0+0+0+0:vgprValuB_X1_I0+0+0+0+1], v[vgprValuA_X1_I0+2+0+0:vgprValuA_X1_I0+2+0+0+1], v[4:7]
	;; [unrolled: 1-line block ×12, first 2 shown]


/* closeLoop loopL finalLoop=0 tailLoop=1 */
s_sub_i32 s[sgprLoopCounterL], s[sgprLoopCounterL], 0x10 // dec counterL (tailLoop)
s_add_u32 s[sgprOrigLoopCounter], s[sgprOrigLoopCounter], 0x10 // inc counterL
s_cmp_le_i32 s[sgprLoopCounterL], 0x0              // counterL<=0
s_cbranch_scc1 TailLoopEndL_7                      // exit LoopL


/* tail loop unroll iter 2 */


/* local read a */

_ds_load_u16 v[vgprValuA_X2_I0+0], v[vgprLocalReadAddrA] offset:0 // L -> Reg lro=0 swapByteOffset=0 ti=64 vIdx=0 rIdx=0 oIdx=0 buffer=2 iui=0
_ds_load_u16_d16_hi v157, v[vgprLocalReadAddrA] offset:128 // L -> Reg lro=0 swapByteOffset=0 ti=64 vIdx=0 rIdx=1 oIdx=0 buffer=2 iui=0
_ds_load_u16 v[vgprValuA_X2_I0+1], v[vgprLocalReadAddrA] offset:256 // L -> Reg lro=0 swapByteOffset=0 ti=64 vIdx=0 rIdx=2 oIdx=0 buffer=2 iui=0
_ds_load_u16_d16_hi v158, v[vgprLocalReadAddrA] offset:384 // L -> Reg lro=0 swapByteOffset=0 ti=64 vIdx=0 rIdx=3 oIdx=0 buffer=2 iui=0
	;; [unrolled: 2-line block ×4, first 2 shown]


/* local read b */

_ds_load_b64 v[vgprValuB_X2_I0+0:vgprValuB_X2_I0+0+1], v[vgprLocalReadAddrB] offset:0 // L -> Reg lro=0 swapByteOffset=0 ti=32 vIdx=0 rIdx=0 oIdx=0 buffer=2 iui=0
_ds_load_b64 v[vgprValuB_X2_I0+2:vgprValuB_X2_I0+2+1], v[vgprLocalReadAddrB] offset:5120 // L -> Reg lro=0 swapByteOffset=0 ti=32 vIdx=1 rIdx=0 oIdx=0 buffer=2 iui=0
	;; [unrolled: 1-line block ×6, first 2 shown]


/* local read inc a */

s_mov_b32 s56, 0x880                               // inc
_v_add_co_u32 v[vgprLocalReadAddrA], vcc, s56, v[vgprLocalReadAddrA] // lrA += 2176 (LSU*(MT+PAD)*bpe)


/* local read inc b */

s_mov_b32 s56, 0x20                                // inc
_v_add_co_u32 v[vgprLocalReadAddrB], vcc, s56, v[vgprLocalReadAddrB] // lrB += 32 (LSU*bpe)

s_waitcnt lgkmcnt(0)                               // lgkmcnt=0 vmcnt=-14wait for local read

v_or_b32 v[vgprValuA_X2_I0+0], v[vgprValuA_X2_I0+0], v157 // pack two half Vgpr to one Vgpr
v_or_b32 v[vgprValuA_X2_I0+1], v[vgprValuA_X2_I0+1], v158 // pack two half Vgpr to one Vgpr
v_or_b32 v[vgprValuA_X2_I0+2], v[vgprValuA_X2_I0+2], v159 // pack two half Vgpr to one Vgpr
v_or_b32 v[vgprValuA_X2_I0+3], v[vgprValuA_X2_I0+3], v160 // pack two half Vgpr to one Vgpr


/* tail loop mfma iter 2: numReadsIterCoalescedA=1, numReadsIterCoalescedB=1 */
v_and_b32 v157, 63, v[vgprSerial]                  // v157 = v[vgprSerial] % 64
v_lshrrev_b32 v157, 4, v157                        // v157 = v157 / 16
v_lshlrev_b32 v157, 0x2, v157                      // v157 = v157 * 4
v_cmp_ge_i32 s[56:57], v157, s[sgprLoopCounterL]   // check K index >= Size L
v_cndmask_b32 v[vgprValuB_X2_I0+0+0+0+0], v[vgprValuB_X2_I0+0+0+0+0], 0x0, s[56:57] // set 0 if K_idx >= sizeL
v_cndmask_b32 v[vgprValuB_X2_I0+2+0+0+0], v[vgprValuB_X2_I0+2+0+0+0], 0x0, s[56:57] // set 0 if K_idx >= sizeL
	;; [unrolled: 1-line block ×12, first 2 shown]
_v_sub_u32 v157, s[sgprLoopCounterL], v157         // get distance between size and k index
v_cmp_lt_i32 s[56:57], v157, 4                     // set partial 0 if distance less than input per thread
s_and_b32 s58, s[sgprLoopCounterL], 3              // get inputs for edge thread
s_sub_u32 s58, 4, s58                              // use shift to fill 0 for outside element
s_lshl_b32 s58, s58, 4                             // use shift to fill 0 for outside element
v_mov_b32 v158, -1                                 // set 0xffffffff
v_mov_b32 v159, -1                                 // set 0xffffffff
v_lshrrev_b64 v[158:159], s58, v[158:159]          // rshift mask for partial k
v_cndmask_b32 v158, -1, v158, s[56:57]             // select shifted mask for partial k
v_cndmask_b32 v159, -1, v159, s[56:57]             // select shifted mask for partial k
v_and_b32 v[vgprValuB_X2_I0+0+0+0+0], v[vgprValuB_X2_I0+0+0+0+0], v158 // 
v_and_b32 v[vgprValuB_X2_I0+0+0+0+1], v[vgprValuB_X2_I0+0+0+0+1], v159 // 
	;; [unrolled: 1-line block ×12, first 2 shown]
s_nop 1
v_mfma_f32_16x16x16_bf16 v[0+0:3+0], v[vgprValuB_X2_I0+0+0+0:vgprValuB_X2_I0+0+0+0+1], v[vgprValuA_X2_I0+0+0+0:vgprValuA_X2_I0+0+0+0+1], v[0:3]
v_mfma_f32_16x16x16_bf16 v[4+0:7+0], v[vgprValuB_X2_I0+0+0+0:vgprValuB_X2_I0+0+0+0+1], v[vgprValuA_X2_I0+2+0+0:vgprValuA_X2_I0+2+0+0+1], v[4:7]
	;; [unrolled: 1-line block ×12, first 2 shown]


/* closeLoop loopL finalLoop=0 tailLoop=1 */
s_sub_i32 s[sgprLoopCounterL], s[sgprLoopCounterL], 0x10 // dec counterL (tailLoop)
s_add_u32 s[sgprOrigLoopCounter], s[sgprOrigLoopCounter], 0x10 // inc counterL
s_cmp_le_i32 s[sgprLoopCounterL], 0x0              // counterL<=0
s_cbranch_scc1 TailLoopEndL_7                      // exit LoopL


/* tail loop unroll iter 3 */


/* local read a */

_ds_load_u16 v[vgprValuA_X3_I0+0], v[vgprLocalReadAddrA] offset:0 // L -> Reg lro=0 swapByteOffset=0 ti=64 vIdx=0 rIdx=0 oIdx=0 buffer=3 iui=0
_ds_load_u16_d16_hi v157, v[vgprLocalReadAddrA] offset:128 // L -> Reg lro=0 swapByteOffset=0 ti=64 vIdx=0 rIdx=1 oIdx=0 buffer=3 iui=0
_ds_load_u16 v[vgprValuA_X3_I0+1], v[vgprLocalReadAddrA] offset:256 // L -> Reg lro=0 swapByteOffset=0 ti=64 vIdx=0 rIdx=2 oIdx=0 buffer=3 iui=0
_ds_load_u16_d16_hi v158, v[vgprLocalReadAddrA] offset:384 // L -> Reg lro=0 swapByteOffset=0 ti=64 vIdx=0 rIdx=3 oIdx=0 buffer=3 iui=0
	;; [unrolled: 2-line block ×4, first 2 shown]


/* local read b */

_ds_load_b64 v[vgprValuB_X3_I0+0:vgprValuB_X3_I0+0+1], v[vgprLocalReadAddrB] offset:0 // L -> Reg lro=0 swapByteOffset=0 ti=32 vIdx=0 rIdx=0 oIdx=0 buffer=3 iui=0
_ds_load_b64 v[vgprValuB_X3_I0+2:vgprValuB_X3_I0+2+1], v[vgprLocalReadAddrB] offset:5120 // L -> Reg lro=0 swapByteOffset=0 ti=32 vIdx=1 rIdx=0 oIdx=0 buffer=3 iui=0
	;; [unrolled: 1-line block ×6, first 2 shown]


/* local read inc a */

s_mov_b32 s56, 0x880                               // inc
_v_add_co_u32 v[vgprLocalReadAddrA], vcc, s56, v[vgprLocalReadAddrA] // lrA += 2176 (LSU*(MT+PAD)*bpe)


/* local read inc b */

s_mov_b32 s56, 0x40                                // inc
_v_add_co_u32 v[vgprLocalReadAddrB], vcc, s56, v[vgprLocalReadAddrB] // lrB += 64 (LSU*bpe)

s_waitcnt lgkmcnt(0)                               // lgkmcnt=0 vmcnt=-14wait for local read

v_or_b32 v[vgprValuA_X3_I0+0], v[vgprValuA_X3_I0+0], v157 // pack two half Vgpr to one Vgpr
v_or_b32 v[vgprValuA_X3_I0+1], v[vgprValuA_X3_I0+1], v158 // pack two half Vgpr to one Vgpr
	;; [unrolled: 1-line block ×4, first 2 shown]


/* tail loop mfma iter 3: numReadsIterCoalescedA=1, numReadsIterCoalescedB=1 */
v_and_b32 v157, 63, v[vgprSerial]                  // v157 = v[vgprSerial] % 64
v_lshrrev_b32 v157, 4, v157                        // v157 = v157 / 16
v_lshlrev_b32 v157, 0x2, v157                      // v157 = v157 * 4
v_cmp_ge_i32 s[56:57], v157, s[sgprLoopCounterL]   // check K index >= Size L
v_cndmask_b32 v[vgprValuB_X3_I0+0+0+0+0], v[vgprValuB_X3_I0+0+0+0+0], 0x0, s[56:57] // set 0 if K_idx >= sizeL
v_cndmask_b32 v[vgprValuB_X3_I0+2+0+0+0], v[vgprValuB_X3_I0+2+0+0+0], 0x0, s[56:57] // set 0 if K_idx >= sizeL
	;; [unrolled: 1-line block ×12, first 2 shown]
_v_sub_u32 v157, s[sgprLoopCounterL], v157         // get distance between size and k index
v_cmp_lt_i32 s[56:57], v157, 4                     // set partial 0 if distance less than input per thread
s_and_b32 s58, s[sgprLoopCounterL], 3              // get inputs for edge thread
s_sub_u32 s58, 4, s58                              // use shift to fill 0 for outside element
s_lshl_b32 s58, s58, 4                             // use shift to fill 0 for outside element
v_mov_b32 v158, -1                                 // set 0xffffffff
v_mov_b32 v159, -1                                 // set 0xffffffff
v_lshrrev_b64 v[158:159], s58, v[158:159]          // rshift mask for partial k
v_cndmask_b32 v158, -1, v158, s[56:57]             // select shifted mask for partial k
v_cndmask_b32 v159, -1, v159, s[56:57]             // select shifted mask for partial k
v_and_b32 v[vgprValuB_X3_I0+0+0+0+0], v[vgprValuB_X3_I0+0+0+0+0], v158 // 
v_and_b32 v[vgprValuB_X3_I0+0+0+0+1], v[vgprValuB_X3_I0+0+0+0+1], v159 // 
	;; [unrolled: 1-line block ×12, first 2 shown]
s_nop 1
v_mfma_f32_16x16x16_bf16 v[0+0:3+0], v[vgprValuB_X3_I0+0+0+0:vgprValuB_X3_I0+0+0+0+1], v[vgprValuA_X3_I0+0+0+0:vgprValuA_X3_I0+0+0+0+1], v[0:3]
v_mfma_f32_16x16x16_bf16 v[4+0:7+0], v[vgprValuB_X3_I0+0+0+0:vgprValuB_X3_I0+0+0+0+1], v[vgprValuA_X3_I0+2+0+0:vgprValuA_X3_I0+2+0+0+1], v[4:7]
	;; [unrolled: 1-line block ×12, first 2 shown]


/* closeLoop loopL finalLoop=1 tailLoop=1 */
s_sub_i32 s[sgprLoopCounterL], s[sgprLoopCounterL], 0x10 // dec counterL (tailLoop)
s_add_u32 s[sgprOrigLoopCounter], s[sgprOrigLoopCounter], 0x10 // inc counterL
s_cmp_le_i32 s[sgprLoopCounterL], 0x0              // counterL<=0
s_cbranch_scc0 TailLoopBeginL_6                    // restart LoopL
TailLoopEndL_7:

SkipTailLoopL_8:

Summation_End_30:
s_setprio 0                                        // optimization store
/* endSummation: add vgpr [48...154) to pool */
.set NumFullBlocks, UNDEF
.set WgmRemainder1, UNDEF
.set MagicNumberWgmRemainder1, UNDEF

/* Mapping of Acc register -> C Vgpr register */

/* Multiply MI out register with Alpha -> C Vgpr register */


/* shift vector components d0 */

v_mov_b32 v49, s[sgprWorkGroup0]                   // 
v_mul_i32_i24 v49, -0x40, v49                      // wg*MT
_v_add_co_u32 v49, vcc, s[sgprSizesFree+0], v49    // wgMT = Size - wg*MT
v_mov_b32 v50, 0x40                                // MT
v_min_u32 v49, v50, v49                            // wgMT = (wgMT < MT) ? wgMT : MT
v_lshrrev_b32 v48, 6, v[vgprSerial]                // v48 = v[vgprSerial] / 64
v_and_b32 v51, 1, v48                              // v51 = v48 % 2
v_lshrrev_b32 v48, 5, v49                          // v48 = v49 / 32
v_and_b32 v52, 1, v48                              // v52 = v48 % 2
v_cmp_eq_u32 s[54:55], v52, v51                    // wave_id == block_belong_to_wave?
v_cndmask_b32 v49, v50, v49, s[54:55]              // wgMT = (wgMT < MT) ? wgMT : MT

/* mbReg: which mb block need to shift, mb(matrixInstCoal(16) * VectorWidth(2)) */
v_lshrrev_b32 v50, 5, v49                          // v50 = v49 / 32
v_lshlrev_b32 v52, 0x0, v51                        // v52 = v51 * 1
_v_sub_u32 v50, v50, v52                           // 

/* gbReg: glvw block id */
v_lshrrev_b32 v52, 3, v49                          // v52 = v49 / 8

/* tgbReg: glvw block id */
v_lshrrev_b32 v48, 0, v[vgprSerial]                // v48 = v[vgprSerial] / 1
v_and_b32 v53, 15, v48                             // v53 = v48 % 16
v_lshlrev_b32 v53, 0x1, v53                        // v53 = v53 * 2
v_lshrrev_b32 v53, 3, v53                          // v53 = v53 / 8
v_lshlrev_b32 v51, 0x2, v51                        // v51 = v51 * 4
_v_add_co_u32 v53, vcc, v51, v53                   // tgbReg = (tid_coal * continOut) / GLVW
_v_sub_u32 v52, v52, v53                           // 

/* vwReg: glvw in which vw block? */
v_and_b32 v51, 1, v49                              // permute register between threads
v_lshrrev_b32 v51, 3, v51                          // permute register between threads

/* rReg : reminder of M_size % GlobalLoadVectorWidth */
v_and_b32 v53, 7, v49                              // v53 = v49 % 8
v_cmp_eq_u32 vcc, v53, 0x1                         // wgMT%VW == 1
s_cbranch_vccnz label_0031                         // branch to shift d0 r=1
v_cmp_eq_u32 vcc, v53, 0x2                         // wgMT%VW == 2
s_cbranch_vccnz label_0034                         // branch to shift d0 r=2
v_cmp_eq_u32 vcc, v53, 0x3                         // wgMT%VW == 3
s_cbranch_vccnz label_0037                         // branch to shift d0 r=3
v_cmp_eq_u32 vcc, v53, 0x4                         // wgMT%VW == 4
s_cbranch_vccnz label_0040                         // branch to shift d0 r=4
v_cmp_eq_u32 vcc, v53, 0x5                         // wgMT%VW == 5
s_cbranch_vccnz label_0043                         // branch to shift d0 r=5
v_cmp_eq_u32 vcc, v53, 0x6                         // wgMT%VW == 6
s_cbranch_vccnz label_0046                         // branch to shift d0 r=6
v_cmp_eq_u32 vcc, v53, 0x7                         // wgMT%VW == 7
s_cbranch_vccnz label_0049                         // branch to shift d0 r=7
s_branch label_0052                                // no shifting

/******************************************/
/* shift d0 r=1                           */
/******************************************/
label_0031:
v_cmp_eq_u32 vcc, v50, 0x0                         // 
s_cbranch_vccnz label_0032                         // branch to shift d0 r1 mb0

/******************************************/
/* shift d0 r=2                           */
/******************************************/
label_0034:
v_cmp_eq_u32 vcc, v50, 0x0                         // 
s_cbranch_vccnz label_0035                         // branch to shift d0 r2 mb0

/******************************************/
/* shift d0 r=3                           */
/******************************************/
label_0037:
v_cmp_eq_u32 vcc, v50, 0x0                         // 
s_cbranch_vccnz label_0038                         // branch to shift d0 r3 mb0

/******************************************/
/* shift d0 r=4                           */
/******************************************/
label_0040:
v_cmp_eq_u32 vcc, v50, 0x0                         // 
s_cbranch_vccnz label_0041                         // branch to shift d0 r4 mb0

/******************************************/
/* shift d0 r=5                           */
/******************************************/
label_0043:
v_cmp_eq_u32 vcc, v50, 0x0                         // 
s_cbranch_vccnz label_0044                         // branch to shift d0 r5 mb0

/******************************************/
/* shift d0 r=6                           */
/******************************************/
label_0046:
v_cmp_eq_u32 vcc, v50, 0x0                         // 
s_cbranch_vccnz label_0047                         // branch to shift d0 r6 mb0

/******************************************/
/* shift d0 r=7                           */
/******************************************/
label_0049:
v_cmp_eq_u32 vcc, v50, 0x0                         // 
s_cbranch_vccnz label_0050                         // branch to shift d0 r7 mb0

/******************************************/
/* shift d0 r=1 mb=0                      */
/******************************************/
label_0032: // r1 mb0 
v_cmp_eq_u32 vcc, v51, 0x0                         // 
s_cbranch_vccnz label_0033                         // branch to shift d0 r1 mb0 vw0

/******************************************/
/* shift d0 r=2 mb=0                      */
/******************************************/
label_0035: // r2 mb0 
v_cmp_eq_u32 vcc, v51, 0x0                         // 
s_cbranch_vccnz label_0036                         // branch to shift d0 r2 mb0 vw0

/******************************************/
/* shift d0 r=3 mb=0                      */
/******************************************/
label_0038: // r3 mb0 
v_cmp_eq_u32 vcc, v51, 0x0                         // 
s_cbranch_vccnz label_0039                         // branch to shift d0 r3 mb0 vw0

/******************************************/
/* shift d0 r=4 mb=0                      */
/******************************************/
label_0041: // r4 mb0 
v_cmp_eq_u32 vcc, v51, 0x0                         // 
s_cbranch_vccnz label_0042                         // branch to shift d0 r4 mb0 vw0

/******************************************/
/* shift d0 r=5 mb=0                      */
/******************************************/
label_0044: // r5 mb0 
v_cmp_eq_u32 vcc, v51, 0x0                         // 
s_cbranch_vccnz label_0045                         // branch to shift d0 r5 mb0 vw0

/******************************************/
/* shift d0 r=6 mb=0                      */
/******************************************/
label_0047: // r6 mb0 
v_cmp_eq_u32 vcc, v51, 0x0                         // 
s_cbranch_vccnz label_0048                         // branch to shift d0 r6 mb0 vw0

/******************************************/
/* shift d0 r=7 mb=0                      */
/******************************************/
label_0050: // r7 mb0 
v_cmp_eq_u32 vcc, v51, 0x0                         // 
s_cbranch_vccnz label_0051                         // branch to shift d0 r7 mb0 vw0

/******************************************/
/* shift d0 r=1 mb=0 vw0                  */
/******************************************/
label_0033: // r1 mb0 vw0 
s_mov_b32 s54, 0                                   // 
_v_cmpx_eq_u32 s[54:55], v52, s54                  // is thread in edge glvw region
v_and_b32 v48, 63, v[vgprSerial]                   // permute register between threads
v_lshlrev_b32 v48, 2, v48                          // permute register between threads
v_mov_b32 v53, v4                                  // glvw 1 mb 0 tt1 0 r 0
ds_bpermute_b32 v53, v48, v53, offset:12           // permute edge values
s_waitcnt 0                                        // wait for swizzle operation
v_mov_b32 v0, v53                                  // 
v_mov_b32 v53, v5                                  // glvw 1 mb 0 tt1 1 r 0
ds_bpermute_b32 v53, v48, v53, offset:12           // permute edge values
s_waitcnt 0                                        // wait for swizzle operation
v_mov_b32 v1, v53                                  // 
	;; [unrolled: 4-line block ×4, first 2 shown]
v_mov_b32 v53, v12                                 // glvw 1 mb 0 tt1 4 r 0
ds_bpermute_b32 v53, v48, v53, offset:12           // permute edge values
s_waitcnt 0                                        // wait for swizzle operation
v_mov_b32 v8, v53                                  // 
v_mov_b32 v53, v13                                 // glvw 1 mb 0 tt1 5 r 0
ds_bpermute_b32 v53, v48, v53, offset:12           // permute edge values
s_waitcnt 0                                        // wait for swizzle operation
v_mov_b32 v9, v53                                  // 
v_mov_b32 v53, v14                                 // glvw 1 mb 0 tt1 6 r 0
ds_bpermute_b32 v53, v48, v53, offset:12           // permute edge values
s_waitcnt 0                                        // wait for swizzle operation
v_mov_b32 v10, v53                                 // 
v_mov_b32 v53, v15                                 // glvw 1 mb 0 tt1 7 r 0
ds_bpermute_b32 v53, v48, v53, offset:12           // permute edge values
s_waitcnt 0                                        // wait for swizzle operation
v_mov_b32 v11, v53                                 // 
	;; [unrolled: 4-line block ×18, first 2 shown]
s_mov_b64 s[54:55], 0xFFFFFFFFFFFFFFFF             // to restore all threads active
s_or_saveexec_b64 vcc, s[54:55]                    // all threads active
s_branch label_0052                                // done shifting


/******************************************/
/* shift d0 r=2 mb=0 vw0                  */
/******************************************/
label_0036: // r2 mb0 vw0 
s_mov_b32 s54, 0                                   // 
_v_cmpx_eq_u32 s[54:55], v52, s54                  // is thread in edge glvw region
v_and_b32 v48, 63, v[vgprSerial]                   // permute register between threads
v_lshlrev_b32 v48, 2, v48                          // permute register between threads
v_mov_b32 v53, v0                                  // glvw 2 mb 0 tt1 0 r 0
v_mov_b32 v54, v4                                  // glvw 2 mb 0 tt1 0 r 0
ds_bpermute_b32 v53, v48, v53, offset:12           // permute edge values
ds_bpermute_b32 v54, v48, v54, offset:12           // permute edge values
s_waitcnt 0                                        // wait for swizzle operation
v_mov_b32 v0, v53                                  // 
v_mov_b32 v4, v54                                  // 
v_mov_b32 v53, v1                                  // glvw 2 mb 0 tt1 1 r 0
v_mov_b32 v54, v5                                  // glvw 2 mb 0 tt1 1 r 0
ds_bpermute_b32 v53, v48, v53, offset:12           // permute edge values
ds_bpermute_b32 v54, v48, v54, offset:12           // permute edge values
s_waitcnt 0                                        // wait for swizzle operation
v_mov_b32 v1, v53                                  // 
v_mov_b32 v5, v54                                  // 
	;; [unrolled: 7-line block ×4, first 2 shown]
v_mov_b32 v53, v8                                  // glvw 2 mb 0 tt1 4 r 0
v_mov_b32 v54, v12                                 // glvw 2 mb 0 tt1 4 r 0
ds_bpermute_b32 v53, v48, v53, offset:12           // permute edge values
ds_bpermute_b32 v54, v48, v54, offset:12           // permute edge values
s_waitcnt 0                                        // wait for swizzle operation
v_mov_b32 v8, v53                                  // 
v_mov_b32 v12, v54                                 // 
v_mov_b32 v53, v9                                  // glvw 2 mb 0 tt1 5 r 0
v_mov_b32 v54, v13                                 // glvw 2 mb 0 tt1 5 r 0
ds_bpermute_b32 v53, v48, v53, offset:12           // permute edge values
ds_bpermute_b32 v54, v48, v54, offset:12           // permute edge values
s_waitcnt 0                                        // wait for swizzle operation
v_mov_b32 v9, v53                                  // 
v_mov_b32 v13, v54                                 // 
v_mov_b32 v53, v10                                 // glvw 2 mb 0 tt1 6 r 0
v_mov_b32 v54, v14                                 // glvw 2 mb 0 tt1 6 r 0
ds_bpermute_b32 v53, v48, v53, offset:12           // permute edge values
ds_bpermute_b32 v54, v48, v54, offset:12           // permute edge values
s_waitcnt 0                                        // wait for swizzle operation
v_mov_b32 v10, v53                                 // 
v_mov_b32 v14, v54                                 // 
v_mov_b32 v53, v11                                 // glvw 2 mb 0 tt1 7 r 0
v_mov_b32 v54, v15                                 // glvw 2 mb 0 tt1 7 r 0
ds_bpermute_b32 v53, v48, v53, offset:12           // permute edge values
ds_bpermute_b32 v54, v48, v54, offset:12           // permute edge values
s_waitcnt 0                                        // wait for swizzle operation
v_mov_b32 v11, v53                                 // 
	;; [unrolled: 7-line block ×18, first 2 shown]
v_mov_b32 v47, v54                                 // 
s_mov_b64 s[54:55], 0xFFFFFFFFFFFFFFFF             // to restore all threads active
s_or_saveexec_b64 vcc, s[54:55]                    // all threads active
s_branch label_0052                                // done shifting


/******************************************/
/* shift d0 r=3 mb=0 vw0                  */
/******************************************/
label_0039: // r3 mb0 vw0 
s_mov_b32 s54, 0                                   // 
_v_cmpx_eq_u32 s[54:55], v52, s54                  // is thread in edge glvw region
v_and_b32 v48, 63, v[vgprSerial]                   // permute register between threads
v_lshlrev_b32 v48, 2, v48                          // permute register between threads
v_mov_b32 v53, v4                                  // glvw 3 mb 0 tt1 0 r 0
v_mov_b32 v54, v0                                  // glvw 3 mb 0 tt1 0 r 0
ds_bpermute_b32 v53, v48, v53, offset:8            // permute edge values
ds_bpermute_b32 v54, v48, v54, offset:12           // permute edge values
s_waitcnt 0                                        // wait for swizzle operation
v_mov_b32 v0, v53                                  // 
v_mov_b32 v4, v54                                  // 
v_mov_b32 v53, v5                                  // glvw 3 mb 0 tt1 1 r 0
v_mov_b32 v54, v1                                  // glvw 3 mb 0 tt1 1 r 0
ds_bpermute_b32 v53, v48, v53, offset:8            // permute edge values
ds_bpermute_b32 v54, v48, v54, offset:12           // permute edge values
s_waitcnt 0                                        // wait for swizzle operation
v_mov_b32 v1, v53                                  // 
v_mov_b32 v5, v54                                  // 
v_mov_b32 v53, v6                                  // glvw 3 mb 0 tt1 2 r 0
v_mov_b32 v54, v2                                  // glvw 3 mb 0 tt1 2 r 0
ds_bpermute_b32 v53, v48, v53, offset:8            // permute edge values
ds_bpermute_b32 v54, v48, v54, offset:12           // permute edge values
s_waitcnt 0                                        // wait for swizzle operation
v_mov_b32 v2, v53                                  // 
v_mov_b32 v6, v54                                  // 
v_mov_b32 v53, v7                                  // glvw 3 mb 0 tt1 3 r 0
v_mov_b32 v54, v3                                  // glvw 3 mb 0 tt1 3 r 0
ds_bpermute_b32 v53, v48, v53, offset:8            // permute edge values
ds_bpermute_b32 v54, v48, v54, offset:12           // permute edge values
s_waitcnt 0                                        // wait for swizzle operation
v_mov_b32 v3, v53                                  // 
v_mov_b32 v7, v54                                  // 
v_mov_b32 v53, v12                                 // glvw 3 mb 0 tt1 4 r 0
v_mov_b32 v54, v8                                  // glvw 3 mb 0 tt1 4 r 0
ds_bpermute_b32 v53, v48, v53, offset:8            // permute edge values
ds_bpermute_b32 v54, v48, v54, offset:12           // permute edge values
s_waitcnt 0                                        // wait for swizzle operation
v_mov_b32 v8, v53                                  // 
v_mov_b32 v12, v54                                 // 
v_mov_b32 v53, v13                                 // glvw 3 mb 0 tt1 5 r 0
v_mov_b32 v54, v9                                  // glvw 3 mb 0 tt1 5 r 0
ds_bpermute_b32 v53, v48, v53, offset:8            // permute edge values
ds_bpermute_b32 v54, v48, v54, offset:12           // permute edge values
s_waitcnt 0                                        // wait for swizzle operation
v_mov_b32 v9, v53                                  // 
v_mov_b32 v13, v54                                 // 
v_mov_b32 v53, v14                                 // glvw 3 mb 0 tt1 6 r 0
v_mov_b32 v54, v10                                 // glvw 3 mb 0 tt1 6 r 0
ds_bpermute_b32 v53, v48, v53, offset:8            // permute edge values
ds_bpermute_b32 v54, v48, v54, offset:12           // permute edge values
s_waitcnt 0                                        // wait for swizzle operation
v_mov_b32 v10, v53                                 // 
v_mov_b32 v14, v54                                 // 
v_mov_b32 v53, v15                                 // glvw 3 mb 0 tt1 7 r 0
v_mov_b32 v54, v11                                 // glvw 3 mb 0 tt1 7 r 0
ds_bpermute_b32 v53, v48, v53, offset:8            // permute edge values
ds_bpermute_b32 v54, v48, v54, offset:12           // permute edge values
s_waitcnt 0                                        // wait for swizzle operation
v_mov_b32 v11, v53                                 // 
	;; [unrolled: 7-line block ×18, first 2 shown]
v_mov_b32 v47, v54                                 // 
s_mov_b64 s[54:55], 0xFFFFFFFFFFFFFFFF             // to restore all threads active
s_or_saveexec_b64 vcc, s[54:55]                    // all threads active
s_branch label_0052                                // done shifting


/******************************************/
/* shift d0 r=4 mb=0 vw0                  */
/******************************************/
label_0042: // r4 mb0 vw0 
s_mov_b32 s54, 0                                   // 
_v_cmpx_eq_u32 s[54:55], v52, s54                  // is thread in edge glvw region
v_and_b32 v48, 63, v[vgprSerial]                   // permute register between threads
v_lshlrev_b32 v48, 2, v48                          // permute register between threads
v_mov_b32 v53, v0                                  // glvw 4 mb 0 tt1 0 r 0
v_mov_b32 v54, v4                                  // glvw 4 mb 0 tt1 0 r 0
ds_bpermute_b32 v53, v48, v53, offset:8            // permute edge values
ds_bpermute_b32 v54, v48, v54, offset:8            // permute edge values
s_waitcnt 0                                        // wait for swizzle operation
v_mov_b32 v0, v53                                  // 
v_mov_b32 v4, v54                                  // 
v_mov_b32 v53, v1                                  // glvw 4 mb 0 tt1 1 r 0
v_mov_b32 v54, v5                                  // glvw 4 mb 0 tt1 1 r 0
ds_bpermute_b32 v53, v48, v53, offset:8            // permute edge values
ds_bpermute_b32 v54, v48, v54, offset:8            // permute edge values
s_waitcnt 0                                        // wait for swizzle operation
v_mov_b32 v1, v53                                  // 
v_mov_b32 v5, v54                                  // 
v_mov_b32 v53, v2                                  // glvw 4 mb 0 tt1 2 r 0
v_mov_b32 v54, v6                                  // glvw 4 mb 0 tt1 2 r 0
ds_bpermute_b32 v53, v48, v53, offset:8            // permute edge values
ds_bpermute_b32 v54, v48, v54, offset:8            // permute edge values
s_waitcnt 0                                        // wait for swizzle operation
v_mov_b32 v2, v53                                  // 
v_mov_b32 v6, v54                                  // 
v_mov_b32 v53, v3                                  // glvw 4 mb 0 tt1 3 r 0
v_mov_b32 v54, v7                                  // glvw 4 mb 0 tt1 3 r 0
ds_bpermute_b32 v53, v48, v53, offset:8            // permute edge values
ds_bpermute_b32 v54, v48, v54, offset:8            // permute edge values
s_waitcnt 0                                        // wait for swizzle operation
v_mov_b32 v3, v53                                  // 
v_mov_b32 v7, v54                                  // 
v_mov_b32 v53, v8                                  // glvw 4 mb 0 tt1 4 r 0
v_mov_b32 v54, v12                                 // glvw 4 mb 0 tt1 4 r 0
ds_bpermute_b32 v53, v48, v53, offset:8            // permute edge values
ds_bpermute_b32 v54, v48, v54, offset:8            // permute edge values
s_waitcnt 0                                        // wait for swizzle operation
v_mov_b32 v8, v53                                  // 
v_mov_b32 v12, v54                                 // 
v_mov_b32 v53, v9                                  // glvw 4 mb 0 tt1 5 r 0
v_mov_b32 v54, v13                                 // glvw 4 mb 0 tt1 5 r 0
ds_bpermute_b32 v53, v48, v53, offset:8            // permute edge values
ds_bpermute_b32 v54, v48, v54, offset:8            // permute edge values
s_waitcnt 0                                        // wait for swizzle operation
v_mov_b32 v9, v53                                  // 
v_mov_b32 v13, v54                                 // 
v_mov_b32 v53, v10                                 // glvw 4 mb 0 tt1 6 r 0
v_mov_b32 v54, v14                                 // glvw 4 mb 0 tt1 6 r 0
ds_bpermute_b32 v53, v48, v53, offset:8            // permute edge values
ds_bpermute_b32 v54, v48, v54, offset:8            // permute edge values
s_waitcnt 0                                        // wait for swizzle operation
v_mov_b32 v10, v53                                 // 
v_mov_b32 v14, v54                                 // 
v_mov_b32 v53, v11                                 // glvw 4 mb 0 tt1 7 r 0
v_mov_b32 v54, v15                                 // glvw 4 mb 0 tt1 7 r 0
ds_bpermute_b32 v53, v48, v53, offset:8            // permute edge values
ds_bpermute_b32 v54, v48, v54, offset:8            // permute edge values
s_waitcnt 0                                        // wait for swizzle operation
v_mov_b32 v11, v53                                 // 
	;; [unrolled: 7-line block ×18, first 2 shown]
v_mov_b32 v47, v54                                 // 
s_mov_b64 s[54:55], 0xFFFFFFFFFFFFFFFF             // to restore all threads active
s_or_saveexec_b64 vcc, s[54:55]                    // all threads active
s_branch label_0052                                // done shifting


/******************************************/
/* shift d0 r=5 mb=0 vw0                  */
/******************************************/
label_0045: // r5 mb0 vw0 
s_mov_b32 s54, 0                                   // 
_v_cmpx_eq_u32 s[54:55], v52, s54                  // is thread in edge glvw region
v_and_b32 v48, 63, v[vgprSerial]                   // permute register between threads
v_lshlrev_b32 v48, 2, v48                          // permute register between threads
v_mov_b32 v53, v4                                  // glvw 5 mb 0 tt1 0 r 0
v_mov_b32 v54, v0                                  // glvw 5 mb 0 tt1 0 r 0
ds_bpermute_b32 v53, v48, v53, offset:4            // permute edge values
ds_bpermute_b32 v54, v48, v54, offset:8            // permute edge values
s_waitcnt 0                                        // wait for swizzle operation
v_mov_b32 v0, v53                                  // 
v_mov_b32 v4, v54                                  // 
v_mov_b32 v53, v5                                  // glvw 5 mb 0 tt1 1 r 0
v_mov_b32 v54, v1                                  // glvw 5 mb 0 tt1 1 r 0
ds_bpermute_b32 v53, v48, v53, offset:4            // permute edge values
ds_bpermute_b32 v54, v48, v54, offset:8            // permute edge values
s_waitcnt 0                                        // wait for swizzle operation
v_mov_b32 v1, v53                                  // 
v_mov_b32 v5, v54                                  // 
	;; [unrolled: 7-line block ×4, first 2 shown]
v_mov_b32 v53, v12                                 // glvw 5 mb 0 tt1 4 r 0
v_mov_b32 v54, v8                                  // glvw 5 mb 0 tt1 4 r 0
ds_bpermute_b32 v53, v48, v53, offset:4            // permute edge values
ds_bpermute_b32 v54, v48, v54, offset:8            // permute edge values
s_waitcnt 0                                        // wait for swizzle operation
v_mov_b32 v8, v53                                  // 
v_mov_b32 v12, v54                                 // 
v_mov_b32 v53, v13                                 // glvw 5 mb 0 tt1 5 r 0
v_mov_b32 v54, v9                                  // glvw 5 mb 0 tt1 5 r 0
ds_bpermute_b32 v53, v48, v53, offset:4            // permute edge values
ds_bpermute_b32 v54, v48, v54, offset:8            // permute edge values
s_waitcnt 0                                        // wait for swizzle operation
v_mov_b32 v9, v53                                  // 
v_mov_b32 v13, v54                                 // 
v_mov_b32 v53, v14                                 // glvw 5 mb 0 tt1 6 r 0
v_mov_b32 v54, v10                                 // glvw 5 mb 0 tt1 6 r 0
ds_bpermute_b32 v53, v48, v53, offset:4            // permute edge values
ds_bpermute_b32 v54, v48, v54, offset:8            // permute edge values
s_waitcnt 0                                        // wait for swizzle operation
v_mov_b32 v10, v53                                 // 
v_mov_b32 v14, v54                                 // 
v_mov_b32 v53, v15                                 // glvw 5 mb 0 tt1 7 r 0
v_mov_b32 v54, v11                                 // glvw 5 mb 0 tt1 7 r 0
ds_bpermute_b32 v53, v48, v53, offset:4            // permute edge values
ds_bpermute_b32 v54, v48, v54, offset:8            // permute edge values
s_waitcnt 0                                        // wait for swizzle operation
v_mov_b32 v11, v53                                 // 
	;; [unrolled: 7-line block ×18, first 2 shown]
v_mov_b32 v47, v54                                 // 
s_mov_b64 s[54:55], 0xFFFFFFFFFFFFFFFF             // to restore all threads active
s_or_saveexec_b64 vcc, s[54:55]                    // all threads active
s_branch label_0052                                // done shifting


/******************************************/
/* shift d0 r=6 mb=0 vw0                  */
/******************************************/
label_0048: // r6 mb0 vw0 
s_mov_b32 s54, 0                                   // 
_v_cmpx_eq_u32 s[54:55], v52, s54                  // is thread in edge glvw region
v_and_b32 v48, 63, v[vgprSerial]                   // permute register between threads
v_lshlrev_b32 v48, 2, v48                          // permute register between threads
v_mov_b32 v53, v0                                  // glvw 6 mb 0 tt1 0 r 0
v_mov_b32 v54, v4                                  // glvw 6 mb 0 tt1 0 r 0
ds_bpermute_b32 v53, v48, v53, offset:4            // permute edge values
ds_bpermute_b32 v54, v48, v54, offset:4            // permute edge values
s_waitcnt 0                                        // wait for swizzle operation
v_mov_b32 v0, v53                                  // 
v_mov_b32 v4, v54                                  // 
v_mov_b32 v53, v1                                  // glvw 6 mb 0 tt1 1 r 0
v_mov_b32 v54, v5                                  // glvw 6 mb 0 tt1 1 r 0
ds_bpermute_b32 v53, v48, v53, offset:4            // permute edge values
ds_bpermute_b32 v54, v48, v54, offset:4            // permute edge values
s_waitcnt 0                                        // wait for swizzle operation
v_mov_b32 v1, v53                                  // 
v_mov_b32 v5, v54                                  // 
	;; [unrolled: 7-line block ×4, first 2 shown]
v_mov_b32 v53, v8                                  // glvw 6 mb 0 tt1 4 r 0
v_mov_b32 v54, v12                                 // glvw 6 mb 0 tt1 4 r 0
ds_bpermute_b32 v53, v48, v53, offset:4            // permute edge values
ds_bpermute_b32 v54, v48, v54, offset:4            // permute edge values
s_waitcnt 0                                        // wait for swizzle operation
v_mov_b32 v8, v53                                  // 
v_mov_b32 v12, v54                                 // 
v_mov_b32 v53, v9                                  // glvw 6 mb 0 tt1 5 r 0
v_mov_b32 v54, v13                                 // glvw 6 mb 0 tt1 5 r 0
ds_bpermute_b32 v53, v48, v53, offset:4            // permute edge values
ds_bpermute_b32 v54, v48, v54, offset:4            // permute edge values
s_waitcnt 0                                        // wait for swizzle operation
v_mov_b32 v9, v53                                  // 
v_mov_b32 v13, v54                                 // 
v_mov_b32 v53, v10                                 // glvw 6 mb 0 tt1 6 r 0
v_mov_b32 v54, v14                                 // glvw 6 mb 0 tt1 6 r 0
ds_bpermute_b32 v53, v48, v53, offset:4            // permute edge values
ds_bpermute_b32 v54, v48, v54, offset:4            // permute edge values
s_waitcnt 0                                        // wait for swizzle operation
v_mov_b32 v10, v53                                 // 
v_mov_b32 v14, v54                                 // 
v_mov_b32 v53, v11                                 // glvw 6 mb 0 tt1 7 r 0
v_mov_b32 v54, v15                                 // glvw 6 mb 0 tt1 7 r 0
ds_bpermute_b32 v53, v48, v53, offset:4            // permute edge values
ds_bpermute_b32 v54, v48, v54, offset:4            // permute edge values
s_waitcnt 0                                        // wait for swizzle operation
v_mov_b32 v11, v53                                 // 
	;; [unrolled: 7-line block ×18, first 2 shown]
v_mov_b32 v47, v54                                 // 
s_mov_b64 s[54:55], 0xFFFFFFFFFFFFFFFF             // to restore all threads active
s_or_saveexec_b64 vcc, s[54:55]                    // all threads active
s_branch label_0052                                // done shifting


/******************************************/
/* shift d0 r=7 mb=0 vw0                  */
/******************************************/
label_0051: // r7 mb0 vw0 
s_mov_b32 s54, 0                                   // 
_v_cmpx_eq_u32 s[54:55], v52, s54                  // is thread in edge glvw region
v_and_b32 v48, 63, v[vgprSerial]                   // permute register between threads
v_lshlrev_b32 v48, 2, v48                          // permute register between threads
v_mov_b32 v53, v4                                  // glvw 7 mb 0 tt1 0 r 0
v_mov_b32 v54, v0                                  // glvw 7 mb 0 tt1 0 r 0
ds_bpermute_b32 v54, v48, v54, offset:4            // permute edge values
s_waitcnt 0                                        // wait for swizzle operation
v_mov_b32 v0, v53                                  // 
v_mov_b32 v4, v54                                  // 
v_mov_b32 v53, v5                                  // glvw 7 mb 0 tt1 1 r 0
v_mov_b32 v54, v1                                  // glvw 7 mb 0 tt1 1 r 0
ds_bpermute_b32 v54, v48, v54, offset:4            // permute edge values
s_waitcnt 0                                        // wait for swizzle operation
v_mov_b32 v1, v53                                  // 
v_mov_b32 v5, v54                                  // 
	;; [unrolled: 6-line block ×4, first 2 shown]
v_mov_b32 v53, v12                                 // glvw 7 mb 0 tt1 4 r 0
v_mov_b32 v54, v8                                  // glvw 7 mb 0 tt1 4 r 0
ds_bpermute_b32 v54, v48, v54, offset:4            // permute edge values
s_waitcnt 0                                        // wait for swizzle operation
v_mov_b32 v8, v53                                  // 
v_mov_b32 v12, v54                                 // 
v_mov_b32 v53, v13                                 // glvw 7 mb 0 tt1 5 r 0
v_mov_b32 v54, v9                                  // glvw 7 mb 0 tt1 5 r 0
ds_bpermute_b32 v54, v48, v54, offset:4            // permute edge values
s_waitcnt 0                                        // wait for swizzle operation
v_mov_b32 v9, v53                                  // 
v_mov_b32 v13, v54                                 // 
v_mov_b32 v53, v14                                 // glvw 7 mb 0 tt1 6 r 0
v_mov_b32 v54, v10                                 // glvw 7 mb 0 tt1 6 r 0
ds_bpermute_b32 v54, v48, v54, offset:4            // permute edge values
s_waitcnt 0                                        // wait for swizzle operation
v_mov_b32 v10, v53                                 // 
v_mov_b32 v14, v54                                 // 
v_mov_b32 v53, v15                                 // glvw 7 mb 0 tt1 7 r 0
v_mov_b32 v54, v11                                 // glvw 7 mb 0 tt1 7 r 0
ds_bpermute_b32 v54, v48, v54, offset:4            // permute edge values
s_waitcnt 0                                        // wait for swizzle operation
v_mov_b32 v11, v53                                 // 
v_mov_b32 v15, v54                                 // 
v_mov_b32 v53, v20                                 // glvw 7 mb 0 tt1 8 r 0
v_mov_b32 v54, v16                                 // glvw 7 mb 0 tt1 8 r 0
ds_bpermute_b32 v54, v48, v54, offset:4            // permute edge values
s_waitcnt 0                                        // wait for swizzle operation
v_mov_b32 v16, v53                                 // 
v_mov_b32 v20, v54                                 // 
v_mov_b32 v53, v21                                 // glvw 7 mb 0 tt1 9 r 0
v_mov_b32 v54, v17                                 // glvw 7 mb 0 tt1 9 r 0
ds_bpermute_b32 v54, v48, v54, offset:4            // permute edge values
s_waitcnt 0                                        // wait for swizzle operation
v_mov_b32 v17, v53                                 // 
v_mov_b32 v21, v54                                 // 
v_mov_b32 v53, v22                                 // glvw 7 mb 0 tt1 10 r 0
v_mov_b32 v54, v18                                 // glvw 7 mb 0 tt1 10 r 0
ds_bpermute_b32 v54, v48, v54, offset:4            // permute edge values
s_waitcnt 0                                        // wait for swizzle operation
v_mov_b32 v18, v53                                 // 
v_mov_b32 v22, v54                                 // 
v_mov_b32 v53, v23                                 // glvw 7 mb 0 tt1 11 r 0
v_mov_b32 v54, v19                                 // glvw 7 mb 0 tt1 11 r 0
ds_bpermute_b32 v54, v48, v54, offset:4            // permute edge values
s_waitcnt 0                                        // wait for swizzle operation
v_mov_b32 v19, v53                                 // 
v_mov_b32 v23, v54                                 // 
v_mov_b32 v53, v28                                 // glvw 7 mb 0 tt1 12 r 0
v_mov_b32 v54, v24                                 // glvw 7 mb 0 tt1 12 r 0
ds_bpermute_b32 v54, v48, v54, offset:4            // permute edge values
s_waitcnt 0                                        // wait for swizzle operation
v_mov_b32 v24, v53                                 // 
v_mov_b32 v28, v54                                 // 
v_mov_b32 v53, v29                                 // glvw 7 mb 0 tt1 13 r 0
v_mov_b32 v54, v25                                 // glvw 7 mb 0 tt1 13 r 0
ds_bpermute_b32 v54, v48, v54, offset:4            // permute edge values
s_waitcnt 0                                        // wait for swizzle operation
v_mov_b32 v25, v53                                 // 
v_mov_b32 v29, v54                                 // 
v_mov_b32 v53, v30                                 // glvw 7 mb 0 tt1 14 r 0
v_mov_b32 v54, v26                                 // glvw 7 mb 0 tt1 14 r 0
ds_bpermute_b32 v54, v48, v54, offset:4            // permute edge values
s_waitcnt 0                                        // wait for swizzle operation
v_mov_b32 v26, v53                                 // 
v_mov_b32 v30, v54                                 // 
v_mov_b32 v53, v31                                 // glvw 7 mb 0 tt1 15 r 0
v_mov_b32 v54, v27                                 // glvw 7 mb 0 tt1 15 r 0
ds_bpermute_b32 v54, v48, v54, offset:4            // permute edge values
s_waitcnt 0                                        // wait for swizzle operation
v_mov_b32 v27, v53                                 // 
v_mov_b32 v31, v54                                 // 
v_mov_b32 v53, v36                                 // glvw 7 mb 0 tt1 16 r 0
v_mov_b32 v54, v32                                 // glvw 7 mb 0 tt1 16 r 0
ds_bpermute_b32 v54, v48, v54, offset:4            // permute edge values
s_waitcnt 0                                        // wait for swizzle operation
v_mov_b32 v32, v53                                 // 
v_mov_b32 v36, v54                                 // 
v_mov_b32 v53, v37                                 // glvw 7 mb 0 tt1 17 r 0
v_mov_b32 v54, v33                                 // glvw 7 mb 0 tt1 17 r 0
ds_bpermute_b32 v54, v48, v54, offset:4            // permute edge values
s_waitcnt 0                                        // wait for swizzle operation
v_mov_b32 v33, v53                                 // 
v_mov_b32 v37, v54                                 // 
v_mov_b32 v53, v38                                 // glvw 7 mb 0 tt1 18 r 0
v_mov_b32 v54, v34                                 // glvw 7 mb 0 tt1 18 r 0
ds_bpermute_b32 v54, v48, v54, offset:4            // permute edge values
s_waitcnt 0                                        // wait for swizzle operation
v_mov_b32 v34, v53                                 // 
v_mov_b32 v38, v54                                 // 
v_mov_b32 v53, v39                                 // glvw 7 mb 0 tt1 19 r 0
v_mov_b32 v54, v35                                 // glvw 7 mb 0 tt1 19 r 0
ds_bpermute_b32 v54, v48, v54, offset:4            // permute edge values
s_waitcnt 0                                        // wait for swizzle operation
v_mov_b32 v35, v53                                 // 
v_mov_b32 v39, v54                                 // 
v_mov_b32 v53, v44                                 // glvw 7 mb 0 tt1 20 r 0
v_mov_b32 v54, v40                                 // glvw 7 mb 0 tt1 20 r 0
ds_bpermute_b32 v54, v48, v54, offset:4            // permute edge values
s_waitcnt 0                                        // wait for swizzle operation
v_mov_b32 v40, v53                                 // 
v_mov_b32 v44, v54                                 // 
v_mov_b32 v53, v45                                 // glvw 7 mb 0 tt1 21 r 0
v_mov_b32 v54, v41                                 // glvw 7 mb 0 tt1 21 r 0
ds_bpermute_b32 v54, v48, v54, offset:4            // permute edge values
s_waitcnt 0                                        // wait for swizzle operation
v_mov_b32 v41, v53                                 // 
v_mov_b32 v45, v54                                 // 
v_mov_b32 v53, v46                                 // glvw 7 mb 0 tt1 22 r 0
v_mov_b32 v54, v42                                 // glvw 7 mb 0 tt1 22 r 0
ds_bpermute_b32 v54, v48, v54, offset:4            // permute edge values
s_waitcnt 0                                        // wait for swizzle operation
v_mov_b32 v42, v53                                 // 
v_mov_b32 v46, v54                                 // 
v_mov_b32 v53, v47                                 // glvw 7 mb 0 tt1 23 r 0
v_mov_b32 v54, v43                                 // glvw 7 mb 0 tt1 23 r 0
ds_bpermute_b32 v54, v48, v54, offset:4            // permute edge values
s_waitcnt 0                                        // wait for swizzle operation
v_mov_b32 v43, v53                                 // 
v_mov_b32 v47, v54                                 // 
s_mov_b64 s[54:55], 0xFFFFFFFFFFFFFFFF             // to restore all threads active
s_or_saveexec_b64 vcc, s[54:55]                    // all threads active
s_branch label_0052                                // done shifting

label_0052: // end shift0



/* not-LocalSplitU: global write indices */

/* computeStoreVgprs */
v_lshrrev_b32 v52, 6, v[vgprSerial]                // v52 = v[vgprSerial] / 64
v_and_b32 v49, 63, v[vgprSerial]                   // v49 = v[vgprSerial] % 64
v_lshrrev_b32 v49, 4, v49                          // v49 = v49 / 16
v_lshlrev_b32 v49, 0x2, v49                        // thread0 * continuous_output
v_lshrrev_b32 v53, 1, v52                          // v53 = v52 / 2
v_mul_lo_u32 v53, 0x10, v53                        // wave coordination offset 1
_v_add_lshl_u32 v49, v53, v49, 0                   // coordination 1 = vwb *(wave_id1 + tid1)
v_mul_lo_u32 v50, v49, s[sgprStrideC1J]            //  offset 1
v_mul_lo_u32 v51, v49, s[sgprStrideD1J]            //  offset 1
v_and_b32 v53, 1, v52                              // v53 = v52 % 2
v_mul_lo_u32 v53, 0x10, v53                        // wave coordination offset 0
v_and_b32 v48, 15, v[vgprSerial]                   // v48 = v[vgprSerial] % 16
_v_add_lshl_u32 v48, v53, v48, 1                   // coordination 0 = vwa *(wave_id0 + tid0)
s_mul_i32 s53, 64, s[sgprWorkGroup0]               // wgp0 * MT0
_v_add_u32 v48, s53, v48                           // coord 0 = (tid0/MI_m)*4 + waveG0*MIB_m + MT0*SG0
s_mul_i32 s53, 192, s[sgprWorkGroup1]              // wgp1 * MT1
_v_add_u32 v49, s53, v49                           // coord 1 = (tid0%MI_m) + waveG1*MIB_n + MT1*SG1


/* not-LocalSplitU: global write */

s_cmpk_eq_u32 s[sgprBeta], 0x0                     // Beta == 0
s_cbranch_scc0 GW_Beta_69                          // Branch if Beta is not zero

s_and_b32 s54, 63, s[sgprSizeI]                    // s54 = s[sgprSizeI] % 64
s_add_u32 s55, -0x1, s[sgprNumWorkGroups0]         // 
s_cmp_ge_u32 s[sgprWorkGroup0], s55                // wg0 >= nwg0-1 ?
s_cselect_b32 s54, s54, 0                          // set rMT0
s_cmpk_gt_u32 s54, 0x0                             // rMT0 > 0
s_cbranch_scc1 GW_B0_E1_60                         // jump if edges required
s_mov_b32 s57, 0x0                                 // STATIC_DIV: divisior=192
s_mul_i32 s56, 0x2aa, s[sgprSizeJ]                 // tmp1 = dividend * magic hi
s_lshl_b64 s[56:57], s[56:57], 0x10                // left shift 16 bits
s_mul_i32 s55, s[sgprSizeJ], 0xaaab                // tmp0 = dividend * magic lo
s_add_u32 s56, s55, s56                            // add lo
s_addc_u32 s57, s57, 0x0                           // add hi
s_lshr_b64 s[56:57], s[56:57], 0x21                // tmp1 = (dividend * magic) << shift
s_mov_b32 s55, s56                                 // quotient
s_mul_i32 s56, s55, 0xc0                           // quotient*divisor
s_sub_u32 s54, s[sgprSizeJ], s56                   // rReg = dividend - quotient*divisor
s_add_u32 s55, -0x1, s[sgprNumWorkGroups1]         // 
s_cmp_ge_u32 s[sgprWorkGroup1], s55                // wg1 >= nwg1-1
s_cselect_b32 s54, s54, 0                          // set rMT1
s_cmpk_gt_u32 s54, 0x0                             // rMT1 > 0
s_cbranch_scc1 GW_B0_E1_60                         // jump if edges required
GW_B0_E0_57:

/* edge=0, allocate 2 sgpr. perBatchTmpS=2 perBatchMaskS=0 perElementMaskS=0 elementsPerBatch=96 */
/* optSingleColVgpr=1 optSharedColVgpr=0 optSGPRUsage=BufferLoad_Mask optSrdIncForRow=1 */

/******************************************/
/* Global Write Alpha Batch #0 (d1,d0,vc1,vc0) = */
/*    (0,0,0,0:vw2); (0,0,1,0:vw2); (0,0,2,0:vw2); (0,0,3,0:vw2); (1,0,0,0:vw2); (1,0,1,0:vw2); (1,0,2,0:vw2); (1,0,3,0:vw2); (2,0,0,0:vw2); (2,0,1,0:vw2); (2,0,2,0:vw2); (2,0,3,0:vw2); (3,0,0,0:vw2); (3,0,1,0:vw2); (3,0,2,0:vw2); (3,0,3,0:vw2); (4,0,0,0:vw2); (4,0,1,0:vw2); (4,0,2,0:vw2); (4,0,3,0:vw2); (5,0,0,0:vw2); (5,0,1,0:vw2); (5,0,2,0:vw2); (5,0,3,0:vw2) */
/******************************************/

/* calc coords, apply mask, and issue loads (if necessary) */
/* (d1,vc1,d0,vc0)=(0,0,0,0) */
/* (d1,vc1,d0,vc0)=(0,1,0,0) */
	;; [unrolled: 1-line block ×24, first 2 shown]
_v_add_lshl_u32 v58, v51, v48, 0x1                 // optSingleColVgpr scaleToBpe: sharedAddrVgpr <- cinRowPtr + coord0, scaled by BPE. BSHERE:coord0=48, coord0Vgpr=48

/* rC *= alpha batchElements=[(0, 0, 0, 0), (0, 0, 1, 0), (0, 0, 2, 0), (0, 0, 3, 0), (1, 0, 0, 0), (1, 0, 1, 0), (1, 0, 2, 0), (1, 0, 3, 0), (2, 0, 0, 0), (2, 0, 1, 0), (2, 0, 2, 0), (2, 0, 3, 0), (3, 0, 0, 0), (3, 0, 1, 0), (3, 0, 2, 0), (3, 0, 3, 0), (4, 0, 0, 0), (4, 0, 1, 0), (4, 0, 2, 0), (4, 0, 3, 0), (5, 0, 0, 0), (5, 0, 1, 0), (5, 0, 2, 0), (5, 0, 3, 0)] */
v_mul_f32 v[vgprValuC+60], s[sgprAlpha], v[vgprValuC+0] // Multiply MI out reg with alpha
v_mul_f32 v[vgprValuC+61], s[sgprAlpha], v[vgprValuC+4] // Multiply MI out reg with alpha
	;; [unrolled: 1-line block ×48, first 2 shown]

/* apply mask, calc new C and issue writes */
v_mov_b32 v55, 0xffff0000                          // mask for pack two bfloat16 element to 32bit
v_mov_b32 v56, 0x7fff0000                          // fp32 Nan
v_mov_b32 v57, 0x7fff                              // rounding bias for bfloat16
v_cmp_u_f32 s[54:55], v[vgprValuC+60], v[vgprValuC+60] // check Nan
v_bfe_u32 v54, v[vgprValuC+60], 16, 1              // Non-Nan case: store lsb of bf16
v_add3_u32 v54, v[vgprValuC+60], v54, v57          // Non-Nan case: add lsb and the increment for rounding
v_cndmask_b32 v[vgprValuC+60], v54, v56, s[54:55]  // 
v_lshrrev_b32 v[vgprValuC+60], 16, v[vgprValuC+60] // convert C to bf16
v_cmp_u_f32 s[54:55], v[vgprValuC+61], v[vgprValuC+61] // check Nan
v_bfe_u32 v54, v[vgprValuC+61], 16, 1              // Non-Nan case: store lsb of bf16
v_add3_u32 v54, v[vgprValuC+61], v54, v57          // Non-Nan case: add lsb and the increment for rounding
v_cndmask_b32 v[vgprValuC+61], v54, v56, s[54:55]  // 
v_and_or_b32 v60, v[vgprValuC+61], v55, v[vgprValuC+60] // pack two bf16 to dword
_buffer_store_b32 v60, v58, s[sgprSrdD:sgprSrdD+3], 0, offen, offset:0,  sc1 // store D
v_cmp_u_f32 s[54:55], v[vgprValuC+62], v[vgprValuC+62] // check Nan
v_bfe_u32 v54, v[vgprValuC+62], 16, 1              // Non-Nan case: store lsb of bf16
v_add3_u32 v54, v[vgprValuC+62], v54, v57          // Non-Nan case: add lsb and the increment for rounding
v_cndmask_b32 v[vgprValuC+62], v54, v56, s[54:55]  // 
v_lshrrev_b32 v[vgprValuC+62], 16, v[vgprValuC+62] // convert C to bf16
v_cmp_u_f32 s[54:55], v[vgprValuC+63], v[vgprValuC+63] // check Nan
v_bfe_u32 v54, v[vgprValuC+63], 16, 1              // Non-Nan case: store lsb of bf16
v_add3_u32 v54, v[vgprValuC+63], v54, v57          // Non-Nan case: add lsb and the increment for rounding
v_cndmask_b32 v[vgprValuC+63], v54, v56, s[54:55]  // 
v_and_or_b32 v62, v[vgprValuC+63], v55, v[vgprValuC+62] // pack two bf16 to dword
s_lshl_b32  s54, s[sgprStrideD1J], 1               // incToNextRow: Scale by BPE
s_add_u32  s[sgprSrdD+0], s[sgprSrdD+0], s54       // incToNextRow: gra SRD += inc(lower)
s_addc_u32  s[sgprSrdD+1], s[sgprSrdD+1], 0        // incToNextRow: gra SRD += inc(upper)
_buffer_store_b32 v62, v58, s[sgprSrdD:sgprSrdD+3], 0, offen, offset:0,  sc1 // store D
v_cmp_u_f32 s[54:55], v[vgprValuC+64], v[vgprValuC+64] // check Nan
v_bfe_u32 v54, v[vgprValuC+64], 16, 1              // Non-Nan case: store lsb of bf16
v_add3_u32 v54, v[vgprValuC+64], v54, v57          // Non-Nan case: add lsb and the increment for rounding
v_cndmask_b32 v[vgprValuC+64], v54, v56, s[54:55]  // 
v_lshrrev_b32 v[vgprValuC+64], 16, v[vgprValuC+64] // convert C to bf16
v_cmp_u_f32 s[54:55], v[vgprValuC+65], v[vgprValuC+65] // check Nan
v_bfe_u32 v54, v[vgprValuC+65], 16, 1              // Non-Nan case: store lsb of bf16
v_add3_u32 v54, v[vgprValuC+65], v54, v57          // Non-Nan case: add lsb and the increment for rounding
v_cndmask_b32 v[vgprValuC+65], v54, v56, s[54:55]  // 
v_and_or_b32 v64, v[vgprValuC+65], v55, v[vgprValuC+64] // pack two bf16 to dword
s_lshl_b32  s54, s[sgprStrideD1J], 1               // incToNextRow: Scale by BPE
s_add_u32  s[sgprSrdD+0], s[sgprSrdD+0], s54       // incToNextRow: gra SRD += inc(lower)
s_addc_u32  s[sgprSrdD+1], s[sgprSrdD+1], 0        // incToNextRow: gra SRD += inc(upper)
_buffer_store_b32 v64, v58, s[sgprSrdD:sgprSrdD+3], 0, offen, offset:0,  sc1 // store D
v_cmp_u_f32 s[54:55], v[vgprValuC+66], v[vgprValuC+66] // check Nan
v_bfe_u32 v54, v[vgprValuC+66], 16, 1              // Non-Nan case: store lsb of bf16
v_add3_u32 v54, v[vgprValuC+66], v54, v57          // Non-Nan case: add lsb and the increment for rounding
v_cndmask_b32 v[vgprValuC+66], v54, v56, s[54:55]  // 
v_lshrrev_b32 v[vgprValuC+66], 16, v[vgprValuC+66] // convert C to bf16
v_cmp_u_f32 s[54:55], v[vgprValuC+67], v[vgprValuC+67] // check Nan
v_bfe_u32 v54, v[vgprValuC+67], 16, 1              // Non-Nan case: store lsb of bf16
v_add3_u32 v54, v[vgprValuC+67], v54, v57          // Non-Nan case: add lsb and the increment for rounding
v_cndmask_b32 v[vgprValuC+67], v54, v56, s[54:55]  // 
v_and_or_b32 v66, v[vgprValuC+67], v55, v[vgprValuC+66] // pack two bf16 to dword
s_lshl_b32  s54, s[sgprStrideD1J], 1               // incToNextRow: Scale by BPE
s_add_u32  s[sgprSrdD+0], s[sgprSrdD+0], s54       // incToNextRow: gra SRD += inc(lower)
s_addc_u32  s[sgprSrdD+1], s[sgprSrdD+1], 0        // incToNextRow: gra SRD += inc(upper)
_buffer_store_b32 v66, v58, s[sgprSrdD:sgprSrdD+3], 0, offen, offset:0,  sc1 // store D
v_cmp_u_f32 s[54:55], v[vgprValuC+68], v[vgprValuC+68] // check Nan
v_bfe_u32 v54, v[vgprValuC+68], 16, 1              // Non-Nan case: store lsb of bf16
v_add3_u32 v54, v[vgprValuC+68], v54, v57          // Non-Nan case: add lsb and the increment for rounding
v_cndmask_b32 v[vgprValuC+68], v54, v56, s[54:55]  // 
v_lshrrev_b32 v[vgprValuC+68], 16, v[vgprValuC+68] // convert C to bf16
v_cmp_u_f32 s[54:55], v[vgprValuC+69], v[vgprValuC+69] // check Nan
v_bfe_u32 v54, v[vgprValuC+69], 16, 1              // Non-Nan case: store lsb of bf16
v_add3_u32 v54, v[vgprValuC+69], v54, v57          // Non-Nan case: add lsb and the increment for rounding
v_cndmask_b32 v[vgprValuC+69], v54, v56, s[54:55]  // 
v_and_or_b32 v68, v[vgprValuC+69], v55, v[vgprValuC+68] // pack two bf16 to dword
s_mul_i32 s54, s[sgprStrideD1J], 58                // scale StrideD *= numRows(29) * bpe
s_add_u32  s[sgprSrdD+0], s[sgprSrdD+0], s54       // incToNextRow: gra SRD += inc(lower)
s_addc_u32  s[sgprSrdD+1], s[sgprSrdD+1], 0        // incToNextRow: gra SRD += inc(upper)
_buffer_store_b32 v68, v58, s[sgprSrdD:sgprSrdD+3], 0, offen, offset:0,  sc1 // store D
v_cmp_u_f32 s[54:55], v[vgprValuC+70], v[vgprValuC+70] // check Nan
v_bfe_u32 v54, v[vgprValuC+70], 16, 1              // Non-Nan case: store lsb of bf16
v_add3_u32 v54, v[vgprValuC+70], v54, v57          // Non-Nan case: add lsb and the increment for rounding
v_cndmask_b32 v[vgprValuC+70], v54, v56, s[54:55]  // 
v_lshrrev_b32 v[vgprValuC+70], 16, v[vgprValuC+70] // convert C to bf16
v_cmp_u_f32 s[54:55], v[vgprValuC+71], v[vgprValuC+71] // check Nan
v_bfe_u32 v54, v[vgprValuC+71], 16, 1              // Non-Nan case: store lsb of bf16
v_add3_u32 v54, v[vgprValuC+71], v54, v57          // Non-Nan case: add lsb and the increment for rounding
v_cndmask_b32 v[vgprValuC+71], v54, v56, s[54:55]  // 
v_and_or_b32 v70, v[vgprValuC+71], v55, v[vgprValuC+70] // pack two bf16 to dword
s_lshl_b32  s54, s[sgprStrideD1J], 1               // incToNextRow: Scale by BPE
s_add_u32  s[sgprSrdD+0], s[sgprSrdD+0], s54       // incToNextRow: gra SRD += inc(lower)
s_addc_u32  s[sgprSrdD+1], s[sgprSrdD+1], 0        // incToNextRow: gra SRD += inc(upper)
_buffer_store_b32 v70, v58, s[sgprSrdD:sgprSrdD+3], 0, offen, offset:0,  sc1 // store D
v_cmp_u_f32 s[54:55], v[vgprValuC+72], v[vgprValuC+72] // check Nan
v_bfe_u32 v54, v[vgprValuC+72], 16, 1              // Non-Nan case: store lsb of bf16
v_add3_u32 v54, v[vgprValuC+72], v54, v57          // Non-Nan case: add lsb and the increment for rounding
v_cndmask_b32 v[vgprValuC+72], v54, v56, s[54:55]  // 
v_lshrrev_b32 v[vgprValuC+72], 16, v[vgprValuC+72] // convert C to bf16
v_cmp_u_f32 s[54:55], v[vgprValuC+73], v[vgprValuC+73] // check Nan
v_bfe_u32 v54, v[vgprValuC+73], 16, 1              // Non-Nan case: store lsb of bf16
v_add3_u32 v54, v[vgprValuC+73], v54, v57          // Non-Nan case: add lsb and the increment for rounding
v_cndmask_b32 v[vgprValuC+73], v54, v56, s[54:55]  // 
v_and_or_b32 v72, v[vgprValuC+73], v55, v[vgprValuC+72] // pack two bf16 to dword
s_lshl_b32  s54, s[sgprStrideD1J], 1               // incToNextRow: Scale by BPE
s_add_u32  s[sgprSrdD+0], s[sgprSrdD+0], s54       // incToNextRow: gra SRD += inc(lower)
s_addc_u32  s[sgprSrdD+1], s[sgprSrdD+1], 0        // incToNextRow: gra SRD += inc(upper)
_buffer_store_b32 v72, v58, s[sgprSrdD:sgprSrdD+3], 0, offen, offset:0,  sc1 // store D
v_cmp_u_f32 s[54:55], v[vgprValuC+74], v[vgprValuC+74] // check Nan
v_bfe_u32 v54, v[vgprValuC+74], 16, 1              // Non-Nan case: store lsb of bf16
v_add3_u32 v54, v[vgprValuC+74], v54, v57          // Non-Nan case: add lsb and the increment for rounding
v_cndmask_b32 v[vgprValuC+74], v54, v56, s[54:55]  // 
v_lshrrev_b32 v[vgprValuC+74], 16, v[vgprValuC+74] // convert C to bf16
v_cmp_u_f32 s[54:55], v[vgprValuC+75], v[vgprValuC+75] // check Nan
v_bfe_u32 v54, v[vgprValuC+75], 16, 1              // Non-Nan case: store lsb of bf16
v_add3_u32 v54, v[vgprValuC+75], v54, v57          // Non-Nan case: add lsb and the increment for rounding
v_cndmask_b32 v[vgprValuC+75], v54, v56, s[54:55]  // 
v_and_or_b32 v74, v[vgprValuC+75], v55, v[vgprValuC+74] // pack two bf16 to dword
s_lshl_b32  s54, s[sgprStrideD1J], 1               // incToNextRow: Scale by BPE
s_add_u32  s[sgprSrdD+0], s[sgprSrdD+0], s54       // incToNextRow: gra SRD += inc(lower)
s_addc_u32  s[sgprSrdD+1], s[sgprSrdD+1], 0        // incToNextRow: gra SRD += inc(upper)
_buffer_store_b32 v74, v58, s[sgprSrdD:sgprSrdD+3], 0, offen, offset:0,  sc1 // store D
v_cmp_u_f32 s[54:55], v[vgprValuC+76], v[vgprValuC+76] // check Nan
v_bfe_u32 v54, v[vgprValuC+76], 16, 1              // Non-Nan case: store lsb of bf16
v_add3_u32 v54, v[vgprValuC+76], v54, v57          // Non-Nan case: add lsb and the increment for rounding
v_cndmask_b32 v[vgprValuC+76], v54, v56, s[54:55]  // 
v_lshrrev_b32 v[vgprValuC+76], 16, v[vgprValuC+76] // convert C to bf16
v_cmp_u_f32 s[54:55], v[vgprValuC+77], v[vgprValuC+77] // check Nan
v_bfe_u32 v54, v[vgprValuC+77], 16, 1              // Non-Nan case: store lsb of bf16
v_add3_u32 v54, v[vgprValuC+77], v54, v57          // Non-Nan case: add lsb and the increment for rounding
v_cndmask_b32 v[vgprValuC+77], v54, v56, s[54:55]  // 
v_and_or_b32 v76, v[vgprValuC+77], v55, v[vgprValuC+76] // pack two bf16 to dword
s_mul_i32 s54, s[sgprStrideD1J], 58                // scale StrideD *= numRows(29) * bpe
s_add_u32  s[sgprSrdD+0], s[sgprSrdD+0], s54       // incToNextRow: gra SRD += inc(lower)
s_addc_u32  s[sgprSrdD+1], s[sgprSrdD+1], 0        // incToNextRow: gra SRD += inc(upper)
	;; [unrolled: 56-line block ×4, first 2 shown]
_buffer_store_b32 v92, v58, s[sgprSrdD:sgprSrdD+3], 0, offen, offset:0,  sc1 // store D
v_cmp_u_f32 s[54:55], v[vgprValuC+94], v[vgprValuC+94] // check Nan
v_bfe_u32 v54, v[vgprValuC+94], 16, 1              // Non-Nan case: store lsb of bf16
v_add3_u32 v54, v[vgprValuC+94], v54, v57          // Non-Nan case: add lsb and the increment for rounding
v_cndmask_b32 v[vgprValuC+94], v54, v56, s[54:55]  // 
v_lshrrev_b32 v[vgprValuC+94], 16, v[vgprValuC+94] // convert C to bf16
v_cmp_u_f32 s[54:55], v[vgprValuC+95], v[vgprValuC+95] // check Nan
v_bfe_u32 v54, v[vgprValuC+95], 16, 1              // Non-Nan case: store lsb of bf16
v_add3_u32 v54, v[vgprValuC+95], v54, v57          // Non-Nan case: add lsb and the increment for rounding
v_cndmask_b32 v[vgprValuC+95], v54, v56, s[54:55]  // 
v_and_or_b32 v94, v[vgprValuC+95], v55, v[vgprValuC+94] // pack two bf16 to dword
s_lshl_b32  s54, s[sgprStrideD1J], 1               // incToNextRow: Scale by BPE
s_add_u32  s[sgprSrdD+0], s[sgprSrdD+0], s54       // incToNextRow: gra SRD += inc(lower)
s_addc_u32  s[sgprSrdD+1], s[sgprSrdD+1], 0        // incToNextRow: gra SRD += inc(upper)
_buffer_store_b32 v94, v58, s[sgprSrdD:sgprSrdD+3], 0, offen, offset:0,  sc1 // store D
v_cmp_u_f32 s[54:55], v[vgprValuC+96], v[vgprValuC+96] // check Nan
v_bfe_u32 v54, v[vgprValuC+96], 16, 1              // Non-Nan case: store lsb of bf16
v_add3_u32 v54, v[vgprValuC+96], v54, v57          // Non-Nan case: add lsb and the increment for rounding
v_cndmask_b32 v[vgprValuC+96], v54, v56, s[54:55]  // 
v_lshrrev_b32 v[vgprValuC+96], 16, v[vgprValuC+96] // convert C to bf16
v_cmp_u_f32 s[54:55], v[vgprValuC+97], v[vgprValuC+97] // check Nan
v_bfe_u32 v54, v[vgprValuC+97], 16, 1              // Non-Nan case: store lsb of bf16
v_add3_u32 v54, v[vgprValuC+97], v54, v57          // Non-Nan case: add lsb and the increment for rounding
v_cndmask_b32 v[vgprValuC+97], v54, v56, s[54:55]  // 
v_and_or_b32 v96, v[vgprValuC+97], v55, v[vgprValuC+96] // pack two bf16 to dword
s_lshl_b32  s54, s[sgprStrideD1J], 1               // incToNextRow: Scale by BPE
s_add_u32  s[sgprSrdD+0], s[sgprSrdD+0], s54       // incToNextRow: gra SRD += inc(lower)
s_addc_u32  s[sgprSrdD+1], s[sgprSrdD+1], 0        // incToNextRow: gra SRD += inc(upper)
	;; [unrolled: 14-line block ×3, first 2 shown]
_buffer_store_b32 v98, v58, s[sgprSrdD:sgprSrdD+3], 0, offen, offset:0,  sc1 // store D
v_cmp_u_f32 s[54:55], v[vgprValuC+100], v[vgprValuC+100] // check Nan
v_bfe_u32 v54, v[vgprValuC+100], 16, 1             // Non-Nan case: store lsb of bf16
v_add3_u32 v54, v[vgprValuC+100], v54, v57         // Non-Nan case: add lsb and the increment for rounding
v_cndmask_b32 v[vgprValuC+100], v54, v56, s[54:55] // 
v_lshrrev_b32 v[vgprValuC+100], 16, v[vgprValuC+100] // convert C to bf16
v_cmp_u_f32 s[54:55], v[vgprValuC+101], v[vgprValuC+101] // check Nan
v_bfe_u32 v54, v[vgprValuC+101], 16, 1             // Non-Nan case: store lsb of bf16
v_add3_u32 v54, v[vgprValuC+101], v54, v57         // Non-Nan case: add lsb and the increment for rounding
v_cndmask_b32 v[vgprValuC+101], v54, v56, s[54:55] // 
v_and_or_b32 v100, v[vgprValuC+101], v55, v[vgprValuC+100] // pack two bf16 to dword
s_mul_i32 s54, s[sgprStrideD1J], 58                // scale StrideD *= numRows(29) * bpe
s_add_u32  s[sgprSrdD+0], s[sgprSrdD+0], s54       // incToNextRow: gra SRD += inc(lower)
s_addc_u32  s[sgprSrdD+1], s[sgprSrdD+1], 0        // incToNextRow: gra SRD += inc(upper)
_buffer_store_b32 v100, v58, s[sgprSrdD:sgprSrdD+3], 0, offen, offset:0,  sc1 // store D
v_cmp_u_f32 s[54:55], v[vgprValuC+102], v[vgprValuC+102] // check Nan
v_bfe_u32 v54, v[vgprValuC+102], 16, 1             // Non-Nan case: store lsb of bf16
v_add3_u32 v54, v[vgprValuC+102], v54, v57         // Non-Nan case: add lsb and the increment for rounding
v_cndmask_b32 v[vgprValuC+102], v54, v56, s[54:55] // 
v_lshrrev_b32 v[vgprValuC+102], 16, v[vgprValuC+102] // convert C to bf16
v_cmp_u_f32 s[54:55], v[vgprValuC+103], v[vgprValuC+103] // check Nan
v_bfe_u32 v54, v[vgprValuC+103], 16, 1             // Non-Nan case: store lsb of bf16
v_add3_u32 v54, v[vgprValuC+103], v54, v57         // Non-Nan case: add lsb and the increment for rounding
v_cndmask_b32 v[vgprValuC+103], v54, v56, s[54:55] // 
v_and_or_b32 v102, v[vgprValuC+103], v55, v[vgprValuC+102] // pack two bf16 to dword
s_lshl_b32  s54, s[sgprStrideD1J], 1               // incToNextRow: Scale by BPE
s_add_u32  s[sgprSrdD+0], s[sgprSrdD+0], s54       // incToNextRow: gra SRD += inc(lower)
s_addc_u32  s[sgprSrdD+1], s[sgprSrdD+1], 0        // incToNextRow: gra SRD += inc(upper)
_buffer_store_b32 v102, v58, s[sgprSrdD:sgprSrdD+3], 0, offen, offset:0,  sc1 // store D
v_cmp_u_f32 s[54:55], v[vgprValuC+104], v[vgprValuC+104] // check Nan
v_bfe_u32 v54, v[vgprValuC+104], 16, 1             // Non-Nan case: store lsb of bf16
v_add3_u32 v54, v[vgprValuC+104], v54, v57         // Non-Nan case: add lsb and the increment for rounding
v_cndmask_b32 v[vgprValuC+104], v54, v56, s[54:55] // 
v_lshrrev_b32 v[vgprValuC+104], 16, v[vgprValuC+104] // convert C to bf16
v_cmp_u_f32 s[54:55], v[vgprValuC+105], v[vgprValuC+105] // check Nan
v_bfe_u32 v54, v[vgprValuC+105], 16, 1             // Non-Nan case: store lsb of bf16
v_add3_u32 v54, v[vgprValuC+105], v54, v57         // Non-Nan case: add lsb and the increment for rounding
v_cndmask_b32 v[vgprValuC+105], v54, v56, s[54:55] // 
v_and_or_b32 v104, v[vgprValuC+105], v55, v[vgprValuC+104] // pack two bf16 to dword
s_lshl_b32  s54, s[sgprStrideD1J], 1               // incToNextRow: Scale by BPE
	;; [unrolled: 14-line block ×3, first 2 shown]
s_add_u32  s[sgprSrdD+0], s[sgprSrdD+0], s54       // incToNextRow: gra SRD += inc(lower)
s_addc_u32  s[sgprSrdD+1], s[sgprSrdD+1], 0        // incToNextRow: gra SRD += inc(upper)
_buffer_store_b32 v106, v58, s[sgprSrdD:sgprSrdD+3], 0, offen, offset:0,  sc1 // store D
s_nop 0                                            // 1 wait state required when next inst writes vgprs held by previous dwordx4 store inst
s_branch label_GW_End_68                           // jump to end
GW_B0_E1_60:

/* edge=1, allocate 6 sgpr. perBatchTmpS=4 perBatchMaskS=2 perElementMaskS=0 elementsPerBatch=96 */
/* optSingleColVgpr=0 optSharedColVgpr=0 optSGPRUsage=BufferLoad_Edge_Mask optSrdIncForRow=0 */

/******************************************/
/* Global Write Alpha Edge Batch #0 (d1,d0,vc1,vc0) = */
/*    (0,0,0,0:vw1); (0,0,0,1:vw1); (0,0,1,0:vw1); (0,0,1,1:vw1); (0,0,2,0:vw1); (0,0,2,1:vw1); (0,0,3,0:vw1); (0,0,3,1:vw1); (1,0,0,0:vw1); (1,0,0,1:vw1); (1,0,1,0:vw1); (1,0,1,1:vw1); (1,0,2,0:vw1); (1,0,2,1:vw1); (1,0,3,0:vw1); (1,0,3,1:vw1); (2,0,0,0:vw1); (2,0,0,1:vw1); (2,0,1,0:vw1); (2,0,1,1:vw1); (2,0,2,0:vw1); (2,0,2,1:vw1); (2,0,3,0:vw1); (2,0,3,1:vw1); (3,0,0,0:vw1); (3,0,0,1:vw1); (3,0,1,0:vw1); (3,0,1,1:vw1); (3,0,2,0:vw1); (3,0,2,1:vw1); (3,0,3,0:vw1); (3,0,3,1:vw1); (4,0,0,0:vw1); (4,0,0,1:vw1); (4,0,1,0:vw1); (4,0,1,1:vw1); (4,0,2,0:vw1); (4,0,2,1:vw1); (4,0,3,0:vw1); (4,0,3,1:vw1); (5,0,0,0:vw1); (5,0,0,1:vw1); (5,0,1,0:vw1); (5,0,1,1:vw1); (5,0,2,0:vw1); (5,0,2,1:vw1); (5,0,3,0:vw1); (5,0,3,1:vw1) */
/******************************************/

/* calc coords, apply mask, and issue loads (if necessary) */
/* (d1,vc1,d0,vc0)=(0,0,0,0) */
v_cmp_lt_u32 s[54:55], v48, s[sgprSizeI]           // coord0 < size0
v_cmp_lt_u32 s[58:59], v49, s[sgprSizeJ]           // coord1 < size1
s_and_b64 s[58:59], s[54:55], s[58:59]             // in0 && in1
_v_add_lshl_u32 v58, v51, v48, 0x1                 // scaleToBpe: accumulate d0 lower and *= bpe into Cin addr
v_cndmask_b32 v58, -1, v58, s[58:59]               // LDD clip if OOB. offset
/* (d1,vc1,d0,vc0)=(0,0,0,1) */
_v_add_co_u32 v52, vcc, v48, 1                     // coord0.1: coord0 += d0*sg0*VW + vc0
v_cmp_lt_u32 s[54:55], v52, s[sgprSizeI]           // coord0 < size0
v_cmp_lt_u32 s[58:59], v49, s[sgprSizeJ]           // coord1 < size1
s_and_b64 s[58:59], s[54:55], s[58:59]             // in0 && in1
_v_add_lshl_u32 v60, v51, v52, 0x1                 // scaleToBpe: accumulate d0 lower and *= bpe into Cin addr
v_cndmask_b32 v60, -1, v60, s[58:59]               // LDD clip if OOB. offset
/* (d1,vc1,d0,vc0)=(0,1,0,0) */
_v_add_co_u32 v49, vcc, v49, 1                     // coord1.1: coord1Vgpr += d1*sg1*VW + vc1

/* Fix for UseInitialStridesCD, emitAddressSetupCode */
_v_add_u32 v50, v50, s[sgprStrideC1J]              // ROWINC- Move cinRowPtr to next row
_v_add_u32 v51, v51, s[sgprStrideD1J]              // Move coutRowPtr to next row
v_cmp_lt_u32 s[54:55], v48, s[sgprSizeI]           // coord0 < size0
v_cmp_lt_u32 s[58:59], v49, s[sgprSizeJ]           // coord1 < size1
s_and_b64 s[58:59], s[54:55], s[58:59]             // in0 && in1
_v_add_lshl_u32 v62, v51, v48, 0x1                 // scaleToBpe: accumulate d0 lower and *= bpe into Cin addr
v_cndmask_b32 v62, -1, v62, s[58:59]               // LDD clip if OOB. offset
/* (d1,vc1,d0,vc0)=(0,1,0,1) */
_v_add_co_u32 v52, vcc, v48, 1                     // coord0.1: coord0 += d0*sg0*VW + vc0
v_cmp_lt_u32 s[54:55], v52, s[sgprSizeI]           // coord0 < size0
v_cmp_lt_u32 s[58:59], v49, s[sgprSizeJ]           // coord1 < size1
s_and_b64 s[58:59], s[54:55], s[58:59]             // in0 && in1
_v_add_lshl_u32 v64, v51, v52, 0x1                 // scaleToBpe: accumulate d0 lower and *= bpe into Cin addr
v_cndmask_b32 v64, -1, v64, s[58:59]               // LDD clip if OOB. offset
/* (d1,vc1,d0,vc0)=(0,2,0,0) */
_v_add_co_u32 v49, vcc, v49, 1                     // coord1.1: coord1Vgpr += d1*sg1*VW + vc1

/* Fix for UseInitialStridesCD, emitAddressSetupCode */
_v_add_u32 v50, v50, s[sgprStrideC1J]              // ROWINC- Move cinRowPtr to next row
_v_add_u32 v51, v51, s[sgprStrideD1J]              // Move coutRowPtr to next row
	;; [unrolled: 18-line block ×3, first 2 shown]
v_cmp_lt_u32 s[54:55], v48, s[sgprSizeI]           // coord0 < size0
v_cmp_lt_u32 s[58:59], v49, s[sgprSizeJ]           // coord1 < size1
s_and_b64 s[58:59], s[54:55], s[58:59]             // in0 && in1
_v_add_lshl_u32 v70, v51, v48, 0x1                 // scaleToBpe: accumulate d0 lower and *= bpe into Cin addr
v_cndmask_b32 v70, -1, v70, s[58:59]               // LDD clip if OOB. offset
/* (d1,vc1,d0,vc0)=(0,3,0,1) */
_v_add_co_u32 v52, vcc, v48, 1                     // coord0.1: coord0 += d0*sg0*VW + vc0
v_cmp_lt_u32 s[54:55], v52, s[sgprSizeI]           // coord0 < size0
v_cmp_lt_u32 s[58:59], v49, s[sgprSizeJ]           // coord1 < size1
s_and_b64 s[58:59], s[54:55], s[58:59]             // in0 && in1
_v_add_lshl_u32 v72, v51, v52, 0x1                 // scaleToBpe: accumulate d0 lower and *= bpe into Cin addr
v_cndmask_b32 v72, -1, v72, s[58:59]               // LDD clip if OOB. offset
/* (d1,vc1,d0,vc0)=(1,0,0,0) */
_v_add_co_u32 v49, vcc, v49, 29                    // coord1.1: coord1Vgpr += d1*sg1*VW + vc1

/* Fix for UseInitialStridesCD, emitAddressSetupCode */
s_mul_i32 s54, s[sgprStrideC1J], 29                // scale stride
_v_add_u32 v50, v50, s54                           // ROWINC- Move cinRowPtr to next row
s_mul_i32 s54, s[sgprStrideD1J], 29                // scale stride
_v_add_u32 v51, v51, s54                           // Move coutRowPtr to next row
v_cmp_lt_u32 s[54:55], v48, s[sgprSizeI]           // coord0 < size0
v_cmp_lt_u32 s[58:59], v49, s[sgprSizeJ]           // coord1 < size1
s_and_b64 s[58:59], s[54:55], s[58:59]             // in0 && in1
_v_add_lshl_u32 v74, v51, v48, 0x1                 // scaleToBpe: accumulate d0 lower and *= bpe into Cin addr
v_cndmask_b32 v74, -1, v74, s[58:59]               // LDD clip if OOB. offset
/* (d1,vc1,d0,vc0)=(1,0,0,1) */
_v_add_co_u32 v52, vcc, v48, 1                     // coord0.1: coord0 += d0*sg0*VW + vc0
v_cmp_lt_u32 s[54:55], v52, s[sgprSizeI]           // coord0 < size0
v_cmp_lt_u32 s[58:59], v49, s[sgprSizeJ]           // coord1 < size1
s_and_b64 s[58:59], s[54:55], s[58:59]             // in0 && in1
_v_add_lshl_u32 v76, v51, v52, 0x1                 // scaleToBpe: accumulate d0 lower and *= bpe into Cin addr
v_cndmask_b32 v76, -1, v76, s[58:59]               // LDD clip if OOB. offset
/* (d1,vc1,d0,vc0)=(1,1,0,0) */
_v_add_co_u32 v49, vcc, v49, 1                     // coord1.1: coord1Vgpr += d1*sg1*VW + vc1

/* Fix for UseInitialStridesCD, emitAddressSetupCode */
_v_add_u32 v50, v50, s[sgprStrideC1J]              // ROWINC- Move cinRowPtr to next row
_v_add_u32 v51, v51, s[sgprStrideD1J]              // Move coutRowPtr to next row
v_cmp_lt_u32 s[54:55], v48, s[sgprSizeI]           // coord0 < size0
v_cmp_lt_u32 s[58:59], v49, s[sgprSizeJ]           // coord1 < size1
s_and_b64 s[58:59], s[54:55], s[58:59]             // in0 && in1
_v_add_lshl_u32 v78, v51, v48, 0x1                 // scaleToBpe: accumulate d0 lower and *= bpe into Cin addr
v_cndmask_b32 v78, -1, v78, s[58:59]               // LDD clip if OOB. offset
/* (d1,vc1,d0,vc0)=(1,1,0,1) */
_v_add_co_u32 v52, vcc, v48, 1                     // coord0.1: coord0 += d0*sg0*VW + vc0
v_cmp_lt_u32 s[54:55], v52, s[sgprSizeI]           // coord0 < size0
v_cmp_lt_u32 s[58:59], v49, s[sgprSizeJ]           // coord1 < size1
s_and_b64 s[58:59], s[54:55], s[58:59]             // in0 && in1
_v_add_lshl_u32 v80, v51, v52, 0x1                 // scaleToBpe: accumulate d0 lower and *= bpe into Cin addr
v_cndmask_b32 v80, -1, v80, s[58:59]               // LDD clip if OOB. offset
/* (d1,vc1,d0,vc0)=(1,2,0,0) */
_v_add_co_u32 v49, vcc, v49, 1                     // coord1.1: coord1Vgpr += d1*sg1*VW + vc1

/* Fix for UseInitialStridesCD, emitAddressSetupCode */
_v_add_u32 v50, v50, s[sgprStrideC1J]              // ROWINC- Move cinRowPtr to next row
_v_add_u32 v51, v51, s[sgprStrideD1J]              // Move coutRowPtr to next row
	;; [unrolled: 18-line block ×3, first 2 shown]
v_cmp_lt_u32 s[54:55], v48, s[sgprSizeI]           // coord0 < size0
v_cmp_lt_u32 s[58:59], v49, s[sgprSizeJ]           // coord1 < size1
s_and_b64 s[58:59], s[54:55], s[58:59]             // in0 && in1
_v_add_lshl_u32 v86, v51, v48, 0x1                 // scaleToBpe: accumulate d0 lower and *= bpe into Cin addr
v_cndmask_b32 v86, -1, v86, s[58:59]               // LDD clip if OOB. offset
/* (d1,vc1,d0,vc0)=(1,3,0,1) */
_v_add_co_u32 v52, vcc, v48, 1                     // coord0.1: coord0 += d0*sg0*VW + vc0
v_cmp_lt_u32 s[54:55], v52, s[sgprSizeI]           // coord0 < size0
v_cmp_lt_u32 s[58:59], v49, s[sgprSizeJ]           // coord1 < size1
s_and_b64 s[58:59], s[54:55], s[58:59]             // in0 && in1
_v_add_lshl_u32 v88, v51, v52, 0x1                 // scaleToBpe: accumulate d0 lower and *= bpe into Cin addr
v_cndmask_b32 v88, -1, v88, s[58:59]               // LDD clip if OOB. offset
/* (d1,vc1,d0,vc0)=(2,0,0,0) */
_v_add_co_u32 v49, vcc, v49, 29                    // coord1.1: coord1Vgpr += d1*sg1*VW + vc1

/* Fix for UseInitialStridesCD, emitAddressSetupCode */
s_mul_i32 s54, s[sgprStrideC1J], 29                // scale stride
_v_add_u32 v50, v50, s54                           // ROWINC- Move cinRowPtr to next row
s_mul_i32 s54, s[sgprStrideD1J], 29                // scale stride
_v_add_u32 v51, v51, s54                           // Move coutRowPtr to next row
v_cmp_lt_u32 s[54:55], v48, s[sgprSizeI]           // coord0 < size0
v_cmp_lt_u32 s[58:59], v49, s[sgprSizeJ]           // coord1 < size1
s_and_b64 s[58:59], s[54:55], s[58:59]             // in0 && in1
_v_add_lshl_u32 v90, v51, v48, 0x1                 // scaleToBpe: accumulate d0 lower and *= bpe into Cin addr
v_cndmask_b32 v90, -1, v90, s[58:59]               // LDD clip if OOB. offset
/* (d1,vc1,d0,vc0)=(2,0,0,1) */
_v_add_co_u32 v52, vcc, v48, 1                     // coord0.1: coord0 += d0*sg0*VW + vc0
v_cmp_lt_u32 s[54:55], v52, s[sgprSizeI]           // coord0 < size0
v_cmp_lt_u32 s[58:59], v49, s[sgprSizeJ]           // coord1 < size1
s_and_b64 s[58:59], s[54:55], s[58:59]             // in0 && in1
_v_add_lshl_u32 v92, v51, v52, 0x1                 // scaleToBpe: accumulate d0 lower and *= bpe into Cin addr
v_cndmask_b32 v92, -1, v92, s[58:59]               // LDD clip if OOB. offset
/* (d1,vc1,d0,vc0)=(2,1,0,0) */
_v_add_co_u32 v49, vcc, v49, 1                     // coord1.1: coord1Vgpr += d1*sg1*VW + vc1

/* Fix for UseInitialStridesCD, emitAddressSetupCode */
_v_add_u32 v50, v50, s[sgprStrideC1J]              // ROWINC- Move cinRowPtr to next row
_v_add_u32 v51, v51, s[sgprStrideD1J]              // Move coutRowPtr to next row
v_cmp_lt_u32 s[54:55], v48, s[sgprSizeI]           // coord0 < size0
v_cmp_lt_u32 s[58:59], v49, s[sgprSizeJ]           // coord1 < size1
s_and_b64 s[58:59], s[54:55], s[58:59]             // in0 && in1
_v_add_lshl_u32 v94, v51, v48, 0x1                 // scaleToBpe: accumulate d0 lower and *= bpe into Cin addr
v_cndmask_b32 v94, -1, v94, s[58:59]               // LDD clip if OOB. offset
/* (d1,vc1,d0,vc0)=(2,1,0,1) */
_v_add_co_u32 v52, vcc, v48, 1                     // coord0.1: coord0 += d0*sg0*VW + vc0
v_cmp_lt_u32 s[54:55], v52, s[sgprSizeI]           // coord0 < size0
v_cmp_lt_u32 s[58:59], v49, s[sgprSizeJ]           // coord1 < size1
s_and_b64 s[58:59], s[54:55], s[58:59]             // in0 && in1
_v_add_lshl_u32 v96, v51, v52, 0x1                 // scaleToBpe: accumulate d0 lower and *= bpe into Cin addr
v_cndmask_b32 v96, -1, v96, s[58:59]               // LDD clip if OOB. offset
/* (d1,vc1,d0,vc0)=(2,2,0,0) */
_v_add_co_u32 v49, vcc, v49, 1                     // coord1.1: coord1Vgpr += d1*sg1*VW + vc1

/* Fix for UseInitialStridesCD, emitAddressSetupCode */
_v_add_u32 v50, v50, s[sgprStrideC1J]              // ROWINC- Move cinRowPtr to next row
_v_add_u32 v51, v51, s[sgprStrideD1J]              // Move coutRowPtr to next row
v_cmp_lt_u32 s[54:55], v48, s[sgprSizeI]           // coord0 < size0
v_cmp_lt_u32 s[58:59], v49, s[sgprSizeJ]           // coord1 < size1
s_and_b64 s[58:59], s[54:55], s[58:59]             // in0 && in1
_v_add_lshl_u32 v98, v51, v48, 0x1                 // scaleToBpe: accumulate d0 lower and *= bpe into Cin addr
v_cndmask_b32 v98, -1, v98, s[58:59]               // LDD clip if OOB. offset
/* (d1,vc1,d0,vc0)=(2,2,0,1) */
_v_add_co_u32 v52, vcc, v48, 1                     // coord0.1: coord0 += d0*sg0*VW + vc0
v_cmp_lt_u32 s[54:55], v52, s[sgprSizeI]           // coord0 < size0
v_cmp_lt_u32 s[58:59], v49, s[sgprSizeJ]           // coord1 < size1
s_and_b64 s[58:59], s[54:55], s[58:59]             // in0 && in1
_v_add_lshl_u32 v100, v51, v52, 0x1                // scaleToBpe: accumulate d0 lower and *= bpe into Cin addr
v_cndmask_b32 v100, -1, v100, s[58:59]             // LDD clip if OOB. offset
/* (d1,vc1,d0,vc0)=(2,3,0,0) */
_v_add_co_u32 v49, vcc, v49, 1                     // coord1.1: coord1Vgpr += d1*sg1*VW + vc1

/* Fix for UseInitialStridesCD, emitAddressSetupCode */
_v_add_u32 v50, v50, s[sgprStrideC1J]              // ROWINC- Move cinRowPtr to next row
_v_add_u32 v51, v51, s[sgprStrideD1J]              // Move coutRowPtr to next row
v_cmp_lt_u32 s[54:55], v48, s[sgprSizeI]           // coord0 < size0
v_cmp_lt_u32 s[58:59], v49, s[sgprSizeJ]           // coord1 < size1
s_and_b64 s[58:59], s[54:55], s[58:59]             // in0 && in1
_v_add_lshl_u32 v102, v51, v48, 0x1                // scaleToBpe: accumulate d0 lower and *= bpe into Cin addr
v_cndmask_b32 v102, -1, v102, s[58:59]             // LDD clip if OOB. offset
/* (d1,vc1,d0,vc0)=(2,3,0,1) */
_v_add_co_u32 v52, vcc, v48, 1                     // coord0.1: coord0 += d0*sg0*VW + vc0
v_cmp_lt_u32 s[54:55], v52, s[sgprSizeI]           // coord0 < size0
v_cmp_lt_u32 s[58:59], v49, s[sgprSizeJ]           // coord1 < size1
s_and_b64 s[58:59], s[54:55], s[58:59]             // in0 && in1
_v_add_lshl_u32 v104, v51, v52, 0x1                // scaleToBpe: accumulate d0 lower and *= bpe into Cin addr
v_cndmask_b32 v104, -1, v104, s[58:59]             // LDD clip if OOB. offset
/* (d1,vc1,d0,vc0)=(3,0,0,0) */
_v_add_co_u32 v49, vcc, v49, 29                    // coord1.1: coord1Vgpr += d1*sg1*VW + vc1

/* Fix for UseInitialStridesCD, emitAddressSetupCode */
s_mul_i32 s54, s[sgprStrideC1J], 29                // scale stride
_v_add_u32 v50, v50, s54                           // ROWINC- Move cinRowPtr to next row
s_mul_i32 s54, s[sgprStrideD1J], 29                // scale stride
_v_add_u32 v51, v51, s54                           // Move coutRowPtr to next row
v_cmp_lt_u32 s[54:55], v48, s[sgprSizeI]           // coord0 < size0
v_cmp_lt_u32 s[58:59], v49, s[sgprSizeJ]           // coord1 < size1
s_and_b64 s[58:59], s[54:55], s[58:59]             // in0 && in1
_v_add_lshl_u32 v106, v51, v48, 0x1                // scaleToBpe: accumulate d0 lower and *= bpe into Cin addr
v_cndmask_b32 v106, -1, v106, s[58:59]             // LDD clip if OOB. offset
/* (d1,vc1,d0,vc0)=(3,0,0,1) */
_v_add_co_u32 v52, vcc, v48, 1                     // coord0.1: coord0 += d0*sg0*VW + vc0
v_cmp_lt_u32 s[54:55], v52, s[sgprSizeI]           // coord0 < size0
v_cmp_lt_u32 s[58:59], v49, s[sgprSizeJ]           // coord1 < size1
s_and_b64 s[58:59], s[54:55], s[58:59]             // in0 && in1
_v_add_lshl_u32 v108, v51, v52, 0x1                // scaleToBpe: accumulate d0 lower and *= bpe into Cin addr
v_cndmask_b32 v108, -1, v108, s[58:59]             // LDD clip if OOB. offset
/* (d1,vc1,d0,vc0)=(3,1,0,0) */
_v_add_co_u32 v49, vcc, v49, 1                     // coord1.1: coord1Vgpr += d1*sg1*VW + vc1

/* Fix for UseInitialStridesCD, emitAddressSetupCode */
_v_add_u32 v50, v50, s[sgprStrideC1J]              // ROWINC- Move cinRowPtr to next row
_v_add_u32 v51, v51, s[sgprStrideD1J]              // Move coutRowPtr to next row
v_cmp_lt_u32 s[54:55], v48, s[sgprSizeI]           // coord0 < size0
v_cmp_lt_u32 s[58:59], v49, s[sgprSizeJ]           // coord1 < size1
s_and_b64 s[58:59], s[54:55], s[58:59]             // in0 && in1
_v_add_lshl_u32 v110, v51, v48, 0x1                // scaleToBpe: accumulate d0 lower and *= bpe into Cin addr
v_cndmask_b32 v110, -1, v110, s[58:59]             // LDD clip if OOB. offset
/* (d1,vc1,d0,vc0)=(3,1,0,1) */
_v_add_co_u32 v52, vcc, v48, 1                     // coord0.1: coord0 += d0*sg0*VW + vc0
v_cmp_lt_u32 s[54:55], v52, s[sgprSizeI]           // coord0 < size0
v_cmp_lt_u32 s[58:59], v49, s[sgprSizeJ]           // coord1 < size1
s_and_b64 s[58:59], s[54:55], s[58:59]             // in0 && in1
_v_add_lshl_u32 v112, v51, v52, 0x1                // scaleToBpe: accumulate d0 lower and *= bpe into Cin addr
v_cndmask_b32 v112, -1, v112, s[58:59]             // LDD clip if OOB. offset
/* (d1,vc1,d0,vc0)=(3,2,0,0) */
_v_add_co_u32 v49, vcc, v49, 1                     // coord1.1: coord1Vgpr += d1*sg1*VW + vc1

/* Fix for UseInitialStridesCD, emitAddressSetupCode */
_v_add_u32 v50, v50, s[sgprStrideC1J]              // ROWINC- Move cinRowPtr to next row
_v_add_u32 v51, v51, s[sgprStrideD1J]              // Move coutRowPtr to next row
	;; [unrolled: 18-line block ×3, first 2 shown]
v_cmp_lt_u32 s[54:55], v48, s[sgprSizeI]           // coord0 < size0
v_cmp_lt_u32 s[58:59], v49, s[sgprSizeJ]           // coord1 < size1
s_and_b64 s[58:59], s[54:55], s[58:59]             // in0 && in1
_v_add_lshl_u32 v118, v51, v48, 0x1                // scaleToBpe: accumulate d0 lower and *= bpe into Cin addr
v_cndmask_b32 v118, -1, v118, s[58:59]             // LDD clip if OOB. offset
/* (d1,vc1,d0,vc0)=(3,3,0,1) */
_v_add_co_u32 v52, vcc, v48, 1                     // coord0.1: coord0 += d0*sg0*VW + vc0
v_cmp_lt_u32 s[54:55], v52, s[sgprSizeI]           // coord0 < size0
v_cmp_lt_u32 s[58:59], v49, s[sgprSizeJ]           // coord1 < size1
s_and_b64 s[58:59], s[54:55], s[58:59]             // in0 && in1
_v_add_lshl_u32 v120, v51, v52, 0x1                // scaleToBpe: accumulate d0 lower and *= bpe into Cin addr
v_cndmask_b32 v120, -1, v120, s[58:59]             // LDD clip if OOB. offset
/* (d1,vc1,d0,vc0)=(4,0,0,0) */
_v_add_co_u32 v49, vcc, v49, 29                    // coord1.1: coord1Vgpr += d1*sg1*VW + vc1

/* Fix for UseInitialStridesCD, emitAddressSetupCode */
s_mul_i32 s54, s[sgprStrideC1J], 29                // scale stride
_v_add_u32 v50, v50, s54                           // ROWINC- Move cinRowPtr to next row
s_mul_i32 s54, s[sgprStrideD1J], 29                // scale stride
_v_add_u32 v51, v51, s54                           // Move coutRowPtr to next row
v_cmp_lt_u32 s[54:55], v48, s[sgprSizeI]           // coord0 < size0
v_cmp_lt_u32 s[58:59], v49, s[sgprSizeJ]           // coord1 < size1
s_and_b64 s[58:59], s[54:55], s[58:59]             // in0 && in1
_v_add_lshl_u32 v122, v51, v48, 0x1                // scaleToBpe: accumulate d0 lower and *= bpe into Cin addr
v_cndmask_b32 v122, -1, v122, s[58:59]             // LDD clip if OOB. offset
/* (d1,vc1,d0,vc0)=(4,0,0,1) */
_v_add_co_u32 v52, vcc, v48, 1                     // coord0.1: coord0 += d0*sg0*VW + vc0
v_cmp_lt_u32 s[54:55], v52, s[sgprSizeI]           // coord0 < size0
v_cmp_lt_u32 s[58:59], v49, s[sgprSizeJ]           // coord1 < size1
s_and_b64 s[58:59], s[54:55], s[58:59]             // in0 && in1
_v_add_lshl_u32 v124, v51, v52, 0x1                // scaleToBpe: accumulate d0 lower and *= bpe into Cin addr
v_cndmask_b32 v124, -1, v124, s[58:59]             // LDD clip if OOB. offset
/* (d1,vc1,d0,vc0)=(4,1,0,0) */
_v_add_co_u32 v49, vcc, v49, 1                     // coord1.1: coord1Vgpr += d1*sg1*VW + vc1

/* Fix for UseInitialStridesCD, emitAddressSetupCode */
_v_add_u32 v50, v50, s[sgprStrideC1J]              // ROWINC- Move cinRowPtr to next row
_v_add_u32 v51, v51, s[sgprStrideD1J]              // Move coutRowPtr to next row
v_cmp_lt_u32 s[54:55], v48, s[sgprSizeI]           // coord0 < size0
v_cmp_lt_u32 s[58:59], v49, s[sgprSizeJ]           // coord1 < size1
s_and_b64 s[58:59], s[54:55], s[58:59]             // in0 && in1
_v_add_lshl_u32 v126, v51, v48, 0x1                // scaleToBpe: accumulate d0 lower and *= bpe into Cin addr
v_cndmask_b32 v126, -1, v126, s[58:59]             // LDD clip if OOB. offset
/* (d1,vc1,d0,vc0)=(4,1,0,1) */
_v_add_co_u32 v52, vcc, v48, 1                     // coord0.1: coord0 += d0*sg0*VW + vc0
v_cmp_lt_u32 s[54:55], v52, s[sgprSizeI]           // coord0 < size0
v_cmp_lt_u32 s[58:59], v49, s[sgprSizeJ]           // coord1 < size1
s_and_b64 s[58:59], s[54:55], s[58:59]             // in0 && in1
_v_add_lshl_u32 v128, v51, v52, 0x1                // scaleToBpe: accumulate d0 lower and *= bpe into Cin addr
v_cndmask_b32 v128, -1, v128, s[58:59]             // LDD clip if OOB. offset
/* (d1,vc1,d0,vc0)=(4,2,0,0) */
_v_add_co_u32 v49, vcc, v49, 1                     // coord1.1: coord1Vgpr += d1*sg1*VW + vc1

/* Fix for UseInitialStridesCD, emitAddressSetupCode */
_v_add_u32 v50, v50, s[sgprStrideC1J]              // ROWINC- Move cinRowPtr to next row
_v_add_u32 v51, v51, s[sgprStrideD1J]              // Move coutRowPtr to next row
v_cmp_lt_u32 s[54:55], v48, s[sgprSizeI]           // coord0 < size0
v_cmp_lt_u32 s[58:59], v49, s[sgprSizeJ]           // coord1 < size1
s_and_b64 s[58:59], s[54:55], s[58:59]             // in0 && in1
_v_add_lshl_u32 v130, v51, v48, 0x1                // scaleToBpe: accumulate d0 lower and *= bpe into Cin addr
v_cndmask_b32 v130, -1, v130, s[58:59]             // LDD clip if OOB. offset
/* (d1,vc1,d0,vc0)=(4,2,0,1) */
_v_add_co_u32 v52, vcc, v48, 1                     // coord0.1: coord0 += d0*sg0*VW + vc0
v_cmp_lt_u32 s[54:55], v52, s[sgprSizeI]           // coord0 < size0
v_cmp_lt_u32 s[58:59], v49, s[sgprSizeJ]           // coord1 < size1
s_and_b64 s[58:59], s[54:55], s[58:59]             // in0 && in1
_v_add_lshl_u32 v132, v51, v52, 0x1                // scaleToBpe: accumulate d0 lower and *= bpe into Cin addr
v_cndmask_b32 v132, -1, v132, s[58:59]             // LDD clip if OOB. offset
/* (d1,vc1,d0,vc0)=(4,3,0,0) */
_v_add_co_u32 v49, vcc, v49, 1                     // coord1.1: coord1Vgpr += d1*sg1*VW + vc1

/* Fix for UseInitialStridesCD, emitAddressSetupCode */
_v_add_u32 v50, v50, s[sgprStrideC1J]              // ROWINC- Move cinRowPtr to next row
_v_add_u32 v51, v51, s[sgprStrideD1J]              // Move coutRowPtr to next row
v_cmp_lt_u32 s[54:55], v48, s[sgprSizeI]           // coord0 < size0
v_cmp_lt_u32 s[58:59], v49, s[sgprSizeJ]           // coord1 < size1
s_and_b64 s[58:59], s[54:55], s[58:59]             // in0 && in1
_v_add_lshl_u32 v134, v51, v48, 0x1                // scaleToBpe: accumulate d0 lower and *= bpe into Cin addr
v_cndmask_b32 v134, -1, v134, s[58:59]             // LDD clip if OOB. offset
/* (d1,vc1,d0,vc0)=(4,3,0,1) */
_v_add_co_u32 v52, vcc, v48, 1                     // coord0.1: coord0 += d0*sg0*VW + vc0
v_cmp_lt_u32 s[54:55], v52, s[sgprSizeI]           // coord0 < size0
v_cmp_lt_u32 s[58:59], v49, s[sgprSizeJ]           // coord1 < size1
s_and_b64 s[58:59], s[54:55], s[58:59]             // in0 && in1
_v_add_lshl_u32 v136, v51, v52, 0x1                // scaleToBpe: accumulate d0 lower and *= bpe into Cin addr
v_cndmask_b32 v136, -1, v136, s[58:59]             // LDD clip if OOB. offset
/* (d1,vc1,d0,vc0)=(5,0,0,0) */
_v_add_co_u32 v49, vcc, v49, 29                    // coord1.1: coord1Vgpr += d1*sg1*VW + vc1

/* Fix for UseInitialStridesCD, emitAddressSetupCode */
s_mul_i32 s54, s[sgprStrideC1J], 29                // scale stride
_v_add_u32 v50, v50, s54                           // ROWINC- Move cinRowPtr to next row
s_mul_i32 s54, s[sgprStrideD1J], 29                // scale stride
_v_add_u32 v51, v51, s54                           // Move coutRowPtr to next row
v_cmp_lt_u32 s[54:55], v48, s[sgprSizeI]           // coord0 < size0
v_cmp_lt_u32 s[58:59], v49, s[sgprSizeJ]           // coord1 < size1
s_and_b64 s[58:59], s[54:55], s[58:59]             // in0 && in1
_v_add_lshl_u32 v138, v51, v48, 0x1                // scaleToBpe: accumulate d0 lower and *= bpe into Cin addr
v_cndmask_b32 v138, -1, v138, s[58:59]             // LDD clip if OOB. offset
/* (d1,vc1,d0,vc0)=(5,0,0,1) */
_v_add_co_u32 v52, vcc, v48, 1                     // coord0.1: coord0 += d0*sg0*VW + vc0
v_cmp_lt_u32 s[54:55], v52, s[sgprSizeI]           // coord0 < size0
v_cmp_lt_u32 s[58:59], v49, s[sgprSizeJ]           // coord1 < size1
s_and_b64 s[58:59], s[54:55], s[58:59]             // in0 && in1
_v_add_lshl_u32 v140, v51, v52, 0x1                // scaleToBpe: accumulate d0 lower and *= bpe into Cin addr
v_cndmask_b32 v140, -1, v140, s[58:59]             // LDD clip if OOB. offset
/* (d1,vc1,d0,vc0)=(5,1,0,0) */
_v_add_co_u32 v49, vcc, v49, 1                     // coord1.1: coord1Vgpr += d1*sg1*VW + vc1

/* Fix for UseInitialStridesCD, emitAddressSetupCode */
_v_add_u32 v50, v50, s[sgprStrideC1J]              // ROWINC- Move cinRowPtr to next row
_v_add_u32 v51, v51, s[sgprStrideD1J]              // Move coutRowPtr to next row
v_cmp_lt_u32 s[54:55], v48, s[sgprSizeI]           // coord0 < size0
v_cmp_lt_u32 s[58:59], v49, s[sgprSizeJ]           // coord1 < size1
s_and_b64 s[58:59], s[54:55], s[58:59]             // in0 && in1
_v_add_lshl_u32 v142, v51, v48, 0x1                // scaleToBpe: accumulate d0 lower and *= bpe into Cin addr
v_cndmask_b32 v142, -1, v142, s[58:59]             // LDD clip if OOB. offset
/* (d1,vc1,d0,vc0)=(5,1,0,1) */
_v_add_co_u32 v52, vcc, v48, 1                     // coord0.1: coord0 += d0*sg0*VW + vc0
v_cmp_lt_u32 s[54:55], v52, s[sgprSizeI]           // coord0 < size0
v_cmp_lt_u32 s[58:59], v49, s[sgprSizeJ]           // coord1 < size1
s_and_b64 s[58:59], s[54:55], s[58:59]             // in0 && in1
_v_add_lshl_u32 v144, v51, v52, 0x1                // scaleToBpe: accumulate d0 lower and *= bpe into Cin addr
v_cndmask_b32 v144, -1, v144, s[58:59]             // LDD clip if OOB. offset
/* (d1,vc1,d0,vc0)=(5,2,0,0) */
_v_add_co_u32 v49, vcc, v49, 1                     // coord1.1: coord1Vgpr += d1*sg1*VW + vc1

/* Fix for UseInitialStridesCD, emitAddressSetupCode */
_v_add_u32 v50, v50, s[sgprStrideC1J]              // ROWINC- Move cinRowPtr to next row
_v_add_u32 v51, v51, s[sgprStrideD1J]              // Move coutRowPtr to next row
	;; [unrolled: 18-line block ×3, first 2 shown]
v_cmp_lt_u32 s[54:55], v48, s[sgprSizeI]           // coord0 < size0
v_cmp_lt_u32 s[58:59], v49, s[sgprSizeJ]           // coord1 < size1
s_and_b64 s[58:59], s[54:55], s[58:59]             // in0 && in1
_v_add_lshl_u32 v150, v51, v48, 0x1                // scaleToBpe: accumulate d0 lower and *= bpe into Cin addr
v_cndmask_b32 v150, -1, v150, s[58:59]             // LDD clip if OOB. offset
/* (d1,vc1,d0,vc0)=(5,3,0,1) */
_v_add_co_u32 v52, vcc, v48, 1                     // coord0.1: coord0 += d0*sg0*VW + vc0
v_cmp_lt_u32 s[54:55], v52, s[sgprSizeI]           // coord0 < size0
v_cmp_lt_u32 s[58:59], v49, s[sgprSizeJ]           // coord1 < size1
s_and_b64 s[58:59], s[54:55], s[58:59]             // in0 && in1
_v_add_lshl_u32 v152, v51, v52, 0x1                // scaleToBpe: accumulate d0 lower and *= bpe into Cin addr
v_cndmask_b32 v152, -1, v152, s[58:59]             // LDD clip if OOB. offset

/* rC *= alpha batchElements=[(0, 0, 0, 0), (0, 0, 0, 1), (0, 0, 1, 0), (0, 0, 1, 1), (0, 0, 2, 0), (0, 0, 2, 1), (0, 0, 3, 0), (0, 0, 3, 1), (1, 0, 0, 0), (1, 0, 0, 1), (1, 0, 1, 0), (1, 0, 1, 1), (1, 0, 2, 0), (1, 0, 2, 1), (1, 0, 3, 0), (1, 0, 3, 1), (2, 0, 0, 0), (2, 0, 0, 1), (2, 0, 1, 0), (2, 0, 1, 1), (2, 0, 2, 0), (2, 0, 2, 1), (2, 0, 3, 0), (2, 0, 3, 1), (3, 0, 0, 0), (3, 0, 0, 1), (3, 0, 1, 0), (3, 0, 1, 1), (3, 0, 2, 0), (3, 0, 2, 1), (3, 0, 3, 0), (3, 0, 3, 1), (4, 0, 0, 0), (4, 0, 0, 1), (4, 0, 1, 0), (4, 0, 1, 1), (4, 0, 2, 0), (4, 0, 2, 1), (4, 0, 3, 0), (4, 0, 3, 1), (5, 0, 0, 0), (5, 0, 0, 1), (5, 0, 1, 0), (5, 0, 1, 1), (5, 0, 2, 0), (5, 0, 2, 1), (5, 0, 3, 0), (5, 0, 3, 1)] */
v_mul_f32 v[vgprValuC+59], s[sgprAlpha], v[vgprValuC+0] // Multiply MI out reg with alpha
v_mul_f32 v[vgprValuC+61], s[sgprAlpha], v[vgprValuC+4] // Multiply MI out reg with alpha
	;; [unrolled: 1-line block ×48, first 2 shown]

/* apply mask, calc new C and issue writes */
v_mov_b32 v55, 0xffff0000                          // mask for pack two bfloat16 element to 32bit
v_mov_b32 v56, 0x7fff0000                          // fp32 Nan
v_mov_b32 v57, 0x7fff                              // rounding bias for bfloat16
v_cmp_u_f32 s[54:55], v[vgprValuC+59], v[vgprValuC+59] // check Nan
v_bfe_u32 v54, v[vgprValuC+59], 16, 1              // Non-Nan case: store lsb of bf16
v_add3_u32 v54, v[vgprValuC+59], v54, v57          // Non-Nan case: add lsb and the increment for rounding
v_cndmask_b32 v[vgprValuC+59], v54, v56, s[54:55]  // 
v_lshrrev_b32 v[vgprValuC+59], 16, v[vgprValuC+59] // convert C to bf16
_buffer_store_b16 v59, v58, s[sgprSrdD:sgprSrdD+3], 0, offen, offset:0,  sc1 // store D
v_cmp_u_f32 s[54:55], v[vgprValuC+61], v[vgprValuC+61] // check Nan
v_bfe_u32 v54, v[vgprValuC+61], 16, 1              // Non-Nan case: store lsb of bf16
v_add3_u32 v54, v[vgprValuC+61], v54, v57          // Non-Nan case: add lsb and the increment for rounding
v_cndmask_b32 v[vgprValuC+61], v54, v56, s[54:55]  // 
v_lshrrev_b32 v[vgprValuC+61], 16, v[vgprValuC+61] // convert C to bf16
_buffer_store_b16 v61, v60, s[sgprSrdD:sgprSrdD+3], 0, offen, offset:0,  sc1 // store D
	;; [unrolled: 6-line block ×21, first 2 shown]
v_cmp_u_f32 s[54:55], v[vgprValuC+101], v[vgprValuC+101] // check Nan
v_bfe_u32 v54, v[vgprValuC+101], 16, 1             // Non-Nan case: store lsb of bf16
v_add3_u32 v54, v[vgprValuC+101], v54, v57         // Non-Nan case: add lsb and the increment for rounding
v_cndmask_b32 v[vgprValuC+101], v54, v56, s[54:55] // 
v_lshrrev_b32 v[vgprValuC+101], 16, v[vgprValuC+101] // convert C to bf16
_buffer_store_b16 v101, v100, s[sgprSrdD:sgprSrdD+3], 0, offen, offset:0,  sc1 // store D
v_cmp_u_f32 s[54:55], v[vgprValuC+103], v[vgprValuC+103] // check Nan
v_bfe_u32 v54, v[vgprValuC+103], 16, 1             // Non-Nan case: store lsb of bf16
v_add3_u32 v54, v[vgprValuC+103], v54, v57         // Non-Nan case: add lsb and the increment for rounding
v_cndmask_b32 v[vgprValuC+103], v54, v56, s[54:55] // 
v_lshrrev_b32 v[vgprValuC+103], 16, v[vgprValuC+103] // convert C to bf16
_buffer_store_b16 v103, v102, s[sgprSrdD:sgprSrdD+3], 0, offen, offset:0,  sc1 // store D
	;; [unrolled: 6-line block ×27, first 2 shown]
s_nop 0                                            // 1 wait state required when next inst writes vgprs held by previous dwordx4 store inst
s_branch label_GW_End_68                           // jump to end
GW_Beta_69:
s_and_b32 s54, 63, s[sgprSizeI]                    // s54 = s[sgprSizeI] % 64
s_add_u32 s55, -0x1, s[sgprNumWorkGroups0]         // 
s_cmp_ge_u32 s[sgprWorkGroup0], s55                // wg0 >= nwg0-1 ?
s_cselect_b32 s54, s54, 0                          // set rMT0
s_cmpk_gt_u32 s54, 0x0                             // rMT0 > 0
s_cbranch_scc1 GW_B1_E1_67                         // jump if edges required
s_mov_b32 s57, 0x0                                 // STATIC_DIV: divisior=192
s_mul_i32 s56, 0x2aa, s[sgprSizeJ]                 // tmp1 = dividend * magic hi
s_lshl_b64 s[56:57], s[56:57], 0x10                // left shift 16 bits
s_mul_i32 s55, s[sgprSizeJ], 0xaaab                // tmp0 = dividend * magic lo
s_add_u32 s56, s55, s56                            // add lo
s_addc_u32 s57, s57, 0x0                           // add hi
s_lshr_b64 s[56:57], s[56:57], 0x21                // tmp1 = (dividend * magic) << shift
s_mov_b32 s55, s56                                 // quotient
s_mul_i32 s56, s55, 0xc0                           // quotient*divisor
s_sub_u32 s54, s[sgprSizeJ], s56                   // rReg = dividend - quotient*divisor
s_add_u32 s55, -0x1, s[sgprNumWorkGroups1]         // 
s_cmp_ge_u32 s[sgprWorkGroup1], s55                // wg1 >= nwg1-1
s_cselect_b32 s54, s54, 0                          // set rMT1
s_cmpk_gt_u32 s54, 0x0                             // rMT1 > 0
s_cbranch_scc1 GW_B1_E1_67                         // jump if edges required
GW_B1_E0_64:

/* edge=0, allocate 2 sgpr. perBatchTmpS=2 perBatchMaskS=0 perElementMaskS=0 elementsPerBatch=62 */
/* optSingleColVgpr=1 optSharedColVgpr=0 optSGPRUsage=BufferLoad_Mask optSrdIncForRow=1 */

/******************************************/
/* Global Write Alpha Beta Batch #0 (d1,d0,vc1,vc0) = */
/*    (0,0,0,0:vw2); (0,0,1,0:vw2); (0,0,2,0:vw2); (0,0,3,0:vw2); (1,0,0,0:vw2); (1,0,1,0:vw2); (1,0,2,0:vw2); (1,0,3,0:vw2); (2,0,0,0:vw2); (2,0,1,0:vw2); (2,0,2,0:vw2); (2,0,3,0:vw2); (3,0,0,0:vw2); (3,0,1,0:vw2); (3,0,2,0:vw2); (3,0,3,0:vw2); (4,0,0,0:vw2); (4,0,1,0:vw2); (4,0,2,0:vw2); (4,0,3,0:vw2); (5,0,0,0:vw2); (5,0,1,0:vw2); (5,0,2,0:vw2); (5,0,3,0:vw2) */
/******************************************/

/* calc coords, apply mask, and issue loads (if necessary) */

/* rC *= alpha batchElements=[(0, 0, 0, 0), (0, 0, 1, 0), (0, 0, 2, 0), (0, 0, 3, 0), (1, 0, 0, 0), (1, 0, 1, 0), (1, 0, 2, 0), (1, 0, 3, 0), (2, 0, 0, 0), (2, 0, 1, 0), (2, 0, 2, 0), (2, 0, 3, 0), (3, 0, 0, 0), (3, 0, 1, 0), (3, 0, 2, 0), (3, 0, 3, 0), (4, 0, 0, 0), (4, 0, 1, 0), (4, 0, 2, 0), (4, 0, 3, 0), (5, 0, 0, 0), (5, 0, 1, 0), (5, 0, 2, 0), (5, 0, 3, 0)] */
v_mul_f32 v[vgprValuC+62], s[sgprAlpha], v[vgprValuC+0] // Multiply MI out reg with alpha
v_mul_f32 v[vgprValuC+63], s[sgprAlpha], v[vgprValuC+4] // Multiply MI out reg with alpha
	;; [unrolled: 1-line block ×48, first 2 shown]
/* (d1,vc1,d0,vc0)=(0,0,0,0) */
_v_add_lshl_u32 v59, v50, v48, 0x1                 // optSingleColVgpr scaleToBpe: sharedAddrVgpr <- cinRowPtr + coord0, scaled by BPE. BSHERE:coord0=48, coord0Vgpr=48
_buffer_load_b32 v60, v59, s[sgprSrdC:sgprSrdC+3], 0, offen offset:0,  sc1 // load C for beta calc
/* (d1,vc1,d0,vc0)=(0,1,0,0) */
s_lshl_b32  s54, s[sgprStrideC1J], 1               // incToNextRow: Scale by BPE
s_add_u32  s[sgprSrdC+0], s[sgprSrdC+0], s54       // incToNextRow: gra SRD += inc(lower)
s_addc_u32  s[sgprSrdC+1], s[sgprSrdC+1], 0        // incToNextRow: gra SRD += inc(upper)
_buffer_load_b32 v61, v59, s[sgprSrdC:sgprSrdC+3], 0, offen offset:0,  sc1 // load C for beta calc
/* (d1,vc1,d0,vc0)=(0,2,0,0) */
s_lshl_b32  s54, s[sgprStrideC1J], 1               // incToNextRow: Scale by BPE
s_add_u32  s[sgprSrdC+0], s[sgprSrdC+0], s54       // incToNextRow: gra SRD += inc(lower)
s_addc_u32  s[sgprSrdC+1], s[sgprSrdC+1], 0        // incToNextRow: gra SRD += inc(upper)
_buffer_load_b32 v66, v59, s[sgprSrdC:sgprSrdC+3], 0, offen offset:0,  sc1 // load C for beta calc
/* (d1,vc1,d0,vc0)=(0,3,0,0) */
s_lshl_b32  s54, s[sgprStrideC1J], 1               // incToNextRow: Scale by BPE
s_add_u32  s[sgprSrdC+0], s[sgprSrdC+0], s54       // incToNextRow: gra SRD += inc(lower)
s_addc_u32  s[sgprSrdC+1], s[sgprSrdC+1], 0        // incToNextRow: gra SRD += inc(upper)
_buffer_load_b32 v67, v59, s[sgprSrdC:sgprSrdC+3], 0, offen offset:0,  sc1 // load C for beta calc
/* (d1,vc1,d0,vc0)=(1,0,0,0) */
s_mul_i32 s54, s[sgprStrideC1J], 58                // scale StrideC *= numRows(29) * bpe
s_add_u32  s[sgprSrdC+0], s[sgprSrdC+0], s54       // incToNextRow: gra SRD += inc(lower)
s_addc_u32  s[sgprSrdC+1], s[sgprSrdC+1], 0        // incToNextRow: gra SRD += inc(upper)
_buffer_load_b32 v72, v59, s[sgprSrdC:sgprSrdC+3], 0, offen offset:0,  sc1 // load C for beta calc
/* (d1,vc1,d0,vc0)=(1,1,0,0) */
s_lshl_b32  s54, s[sgprStrideC1J], 1               // incToNextRow: Scale by BPE
s_add_u32  s[sgprSrdC+0], s[sgprSrdC+0], s54       // incToNextRow: gra SRD += inc(lower)
s_addc_u32  s[sgprSrdC+1], s[sgprSrdC+1], 0        // incToNextRow: gra SRD += inc(upper)
_buffer_load_b32 v73, v59, s[sgprSrdC:sgprSrdC+3], 0, offen offset:0,  sc1 // load C for beta calc
/* (d1,vc1,d0,vc0)=(1,2,0,0) */
s_lshl_b32  s54, s[sgprStrideC1J], 1               // incToNextRow: Scale by BPE
s_add_u32  s[sgprSrdC+0], s[sgprSrdC+0], s54       // incToNextRow: gra SRD += inc(lower)
s_addc_u32  s[sgprSrdC+1], s[sgprSrdC+1], 0        // incToNextRow: gra SRD += inc(upper)
_buffer_load_b32 v78, v59, s[sgprSrdC:sgprSrdC+3], 0, offen offset:0,  sc1 // load C for beta calc
/* (d1,vc1,d0,vc0)=(1,3,0,0) */
s_lshl_b32  s54, s[sgprStrideC1J], 1               // incToNextRow: Scale by BPE
s_add_u32  s[sgprSrdC+0], s[sgprSrdC+0], s54       // incToNextRow: gra SRD += inc(lower)
s_addc_u32  s[sgprSrdC+1], s[sgprSrdC+1], 0        // incToNextRow: gra SRD += inc(upper)
_buffer_load_b32 v79, v59, s[sgprSrdC:sgprSrdC+3], 0, offen offset:0,  sc1 // load C for beta calc
/* (d1,vc1,d0,vc0)=(2,0,0,0) */
s_mul_i32 s54, s[sgprStrideC1J], 58                // scale StrideC *= numRows(29) * bpe
s_add_u32  s[sgprSrdC+0], s[sgprSrdC+0], s54       // incToNextRow: gra SRD += inc(lower)
s_addc_u32  s[sgprSrdC+1], s[sgprSrdC+1], 0        // incToNextRow: gra SRD += inc(upper)
	;; [unrolled: 20-line block ×5, first 2 shown]
_buffer_load_b32 v120, v59, s[sgprSrdC:sgprSrdC+3], 0, offen offset:0,  sc1 // load C for beta calc
/* (d1,vc1,d0,vc0)=(5,1,0,0) */
s_lshl_b32  s54, s[sgprStrideC1J], 1               // incToNextRow: Scale by BPE
s_add_u32  s[sgprSrdC+0], s[sgprSrdC+0], s54       // incToNextRow: gra SRD += inc(lower)
s_addc_u32  s[sgprSrdC+1], s[sgprSrdC+1], 0        // incToNextRow: gra SRD += inc(upper)
_buffer_load_b32 v121, v59, s[sgprSrdC:sgprSrdC+3], 0, offen offset:0,  sc1 // load C for beta calc
/* (d1,vc1,d0,vc0)=(5,2,0,0) */
s_lshl_b32  s54, s[sgprStrideC1J], 1               // incToNextRow: Scale by BPE
s_add_u32  s[sgprSrdC+0], s[sgprSrdC+0], s54       // incToNextRow: gra SRD += inc(lower)
s_addc_u32  s[sgprSrdC+1], s[sgprSrdC+1], 0        // incToNextRow: gra SRD += inc(upper)
	;; [unrolled: 5-line block ×3, first 2 shown]
_buffer_load_b32 v127, v59, s[sgprSrdC:sgprSrdC+3], 0, offen offset:0,  sc1 // load C for beta calc
_v_add_lshl_u32 v58, v51, v48, 0x1                 // optSingleColVgpr scaleToBpe: sharedAddrVgpr <- cinRowPtr + coord0, scaled by BPE. BSHERE:coord0=48, coord0Vgpr=48

/* apply mask, calc new C and issue writes */
v_mov_b32 v55, 0xffff0000                          // mask for pack two bfloat16 element to 32bit
v_mov_b32 v56, 0x7fff0000                          // fp32 Nan
v_mov_b32 v57, 0x7fff                              // rounding bias for bfloat16

s_waitcnt vmcnt(23)                                // wait C (interleaved) 23 = 24 - 0 + 0 - 1
v_lshlrev_b32 v52, 16, v60                         // convert bf16 to fp32
_v_mac_f32 v[vgprValuC+62], v52, s[sgprBeta]       // finalSum = sum*alpha + C*beta
v_and_b32 v52, v60, v55                            // convert bf16 to fp32
_v_mac_f32 v[vgprValuC+63], v52, s[sgprBeta]       // finalSum = sum*alpha + C*beta
v_cmp_u_f32 s[54:55], v[vgprValuC+62], v[vgprValuC+62] // check Nan
v_bfe_u32 v54, v[vgprValuC+62], 16, 1              // Non-Nan case: store lsb of bf16
v_add3_u32 v54, v[vgprValuC+62], v54, v57          // Non-Nan case: add lsb and the increment for rounding
v_cndmask_b32 v[vgprValuC+62], v54, v56, s[54:55]  // 
v_lshrrev_b32 v[vgprValuC+62], 16, v[vgprValuC+62] // convert C to bf16
v_cmp_u_f32 s[54:55], v[vgprValuC+63], v[vgprValuC+63] // check Nan
v_bfe_u32 v54, v[vgprValuC+63], 16, 1              // Non-Nan case: store lsb of bf16
v_add3_u32 v54, v[vgprValuC+63], v54, v57          // Non-Nan case: add lsb and the increment for rounding
v_cndmask_b32 v[vgprValuC+63], v54, v56, s[54:55]  // 
v_and_or_b32 v62, v[vgprValuC+63], v55, v[vgprValuC+62] // pack two bf16 to dword
_buffer_store_b32 v62, v58, s[sgprSrdD:sgprSrdD+3], 0, offen, offset:0,  sc1 // store D

s_waitcnt vmcnt(23)                                // wait C (interleaved) 23 = 24 - 1 + 1 - 1
v_lshlrev_b32 v52, 16, v61                         // convert bf16 to fp32
_v_mac_f32 v[vgprValuC+64], v52, s[sgprBeta]       // finalSum = sum*alpha + C*beta
v_and_b32 v52, v61, v55                            // convert bf16 to fp32
_v_mac_f32 v[vgprValuC+65], v52, s[sgprBeta]       // finalSum = sum*alpha + C*beta
v_cmp_u_f32 s[54:55], v[vgprValuC+64], v[vgprValuC+64] // check Nan
v_bfe_u32 v54, v[vgprValuC+64], 16, 1              // Non-Nan case: store lsb of bf16
v_add3_u32 v54, v[vgprValuC+64], v54, v57          // Non-Nan case: add lsb and the increment for rounding
v_cndmask_b32 v[vgprValuC+64], v54, v56, s[54:55]  // 
v_lshrrev_b32 v[vgprValuC+64], 16, v[vgprValuC+64] // convert C to bf16
v_cmp_u_f32 s[54:55], v[vgprValuC+65], v[vgprValuC+65] // check Nan
v_bfe_u32 v54, v[vgprValuC+65], 16, 1              // Non-Nan case: store lsb of bf16
v_add3_u32 v54, v[vgprValuC+65], v54, v57          // Non-Nan case: add lsb and the increment for rounding
v_cndmask_b32 v[vgprValuC+65], v54, v56, s[54:55]  // 
v_and_or_b32 v64, v[vgprValuC+65], v55, v[vgprValuC+64] // pack two bf16 to dword
s_lshl_b32  s54, s[sgprStrideD1J], 1               // incToNextRow: Scale by BPE
s_add_u32  s[sgprSrdD+0], s[sgprSrdD+0], s54       // incToNextRow: gra SRD += inc(lower)
s_addc_u32  s[sgprSrdD+1], s[sgprSrdD+1], 0        // incToNextRow: gra SRD += inc(upper)
_buffer_store_b32 v64, v58, s[sgprSrdD:sgprSrdD+3], 0, offen, offset:0,  sc1 // store D

s_waitcnt vmcnt(23)                                // wait C (interleaved) 23 = 24 - 2 + 2 - 1
v_lshlrev_b32 v52, 16, v66                         // convert bf16 to fp32
_v_mac_f32 v[vgprValuC+68], v52, s[sgprBeta]       // finalSum = sum*alpha + C*beta
v_and_b32 v52, v66, v55                            // convert bf16 to fp32
_v_mac_f32 v[vgprValuC+69], v52, s[sgprBeta]       // finalSum = sum*alpha + C*beta
v_cmp_u_f32 s[54:55], v[vgprValuC+68], v[vgprValuC+68] // check Nan
v_bfe_u32 v54, v[vgprValuC+68], 16, 1              // Non-Nan case: store lsb of bf16
v_add3_u32 v54, v[vgprValuC+68], v54, v57          // Non-Nan case: add lsb and the increment for rounding
v_cndmask_b32 v[vgprValuC+68], v54, v56, s[54:55]  // 
v_lshrrev_b32 v[vgprValuC+68], 16, v[vgprValuC+68] // convert C to bf16
v_cmp_u_f32 s[54:55], v[vgprValuC+69], v[vgprValuC+69] // check Nan
v_bfe_u32 v54, v[vgprValuC+69], 16, 1              // Non-Nan case: store lsb of bf16
v_add3_u32 v54, v[vgprValuC+69], v54, v57          // Non-Nan case: add lsb and the increment for rounding
v_cndmask_b32 v[vgprValuC+69], v54, v56, s[54:55]  // 
v_and_or_b32 v68, v[vgprValuC+69], v55, v[vgprValuC+68] // pack two bf16 to dword
s_lshl_b32  s54, s[sgprStrideD1J], 1               // incToNextRow: Scale by BPE
s_add_u32  s[sgprSrdD+0], s[sgprSrdD+0], s54       // incToNextRow: gra SRD += inc(lower)
s_addc_u32  s[sgprSrdD+1], s[sgprSrdD+1], 0        // incToNextRow: gra SRD += inc(upper)
	;; [unrolled: 20-line block ×3, first 2 shown]
_buffer_store_b32 v70, v58, s[sgprSrdD:sgprSrdD+3], 0, offen, offset:0,  sc1 // store D

s_waitcnt vmcnt(23)                                // wait C (interleaved) 23 = 24 - 4 + 4 - 1
v_lshlrev_b32 v52, 16, v72                         // convert bf16 to fp32
_v_mac_f32 v[vgprValuC+74], v52, s[sgprBeta]       // finalSum = sum*alpha + C*beta
v_and_b32 v52, v72, v55                            // convert bf16 to fp32
_v_mac_f32 v[vgprValuC+75], v52, s[sgprBeta]       // finalSum = sum*alpha + C*beta
v_cmp_u_f32 s[54:55], v[vgprValuC+74], v[vgprValuC+74] // check Nan
v_bfe_u32 v54, v[vgprValuC+74], 16, 1              // Non-Nan case: store lsb of bf16
v_add3_u32 v54, v[vgprValuC+74], v54, v57          // Non-Nan case: add lsb and the increment for rounding
v_cndmask_b32 v[vgprValuC+74], v54, v56, s[54:55]  // 
v_lshrrev_b32 v[vgprValuC+74], 16, v[vgprValuC+74] // convert C to bf16
v_cmp_u_f32 s[54:55], v[vgprValuC+75], v[vgprValuC+75] // check Nan
v_bfe_u32 v54, v[vgprValuC+75], 16, 1              // Non-Nan case: store lsb of bf16
v_add3_u32 v54, v[vgprValuC+75], v54, v57          // Non-Nan case: add lsb and the increment for rounding
v_cndmask_b32 v[vgprValuC+75], v54, v56, s[54:55]  // 
v_and_or_b32 v74, v[vgprValuC+75], v55, v[vgprValuC+74] // pack two bf16 to dword
s_mul_i32 s54, s[sgprStrideD1J], 58                // scale StrideD *= numRows(29) * bpe
s_add_u32  s[sgprSrdD+0], s[sgprSrdD+0], s54       // incToNextRow: gra SRD += inc(lower)
s_addc_u32  s[sgprSrdD+1], s[sgprSrdD+1], 0        // incToNextRow: gra SRD += inc(upper)
_buffer_store_b32 v74, v58, s[sgprSrdD:sgprSrdD+3], 0, offen, offset:0,  sc1 // store D

s_waitcnt vmcnt(23)                                // wait C (interleaved) 23 = 24 - 5 + 5 - 1
v_lshlrev_b32 v52, 16, v73                         // convert bf16 to fp32
_v_mac_f32 v[vgprValuC+76], v52, s[sgprBeta]       // finalSum = sum*alpha + C*beta
v_and_b32 v52, v73, v55                            // convert bf16 to fp32
_v_mac_f32 v[vgprValuC+77], v52, s[sgprBeta]       // finalSum = sum*alpha + C*beta
v_cmp_u_f32 s[54:55], v[vgprValuC+76], v[vgprValuC+76] // check Nan
v_bfe_u32 v54, v[vgprValuC+76], 16, 1              // Non-Nan case: store lsb of bf16
v_add3_u32 v54, v[vgprValuC+76], v54, v57          // Non-Nan case: add lsb and the increment for rounding
v_cndmask_b32 v[vgprValuC+76], v54, v56, s[54:55]  // 
v_lshrrev_b32 v[vgprValuC+76], 16, v[vgprValuC+76] // convert C to bf16
v_cmp_u_f32 s[54:55], v[vgprValuC+77], v[vgprValuC+77] // check Nan
v_bfe_u32 v54, v[vgprValuC+77], 16, 1              // Non-Nan case: store lsb of bf16
v_add3_u32 v54, v[vgprValuC+77], v54, v57          // Non-Nan case: add lsb and the increment for rounding
v_cndmask_b32 v[vgprValuC+77], v54, v56, s[54:55]  // 
v_and_or_b32 v76, v[vgprValuC+77], v55, v[vgprValuC+76] // pack two bf16 to dword
s_lshl_b32  s54, s[sgprStrideD1J], 1               // incToNextRow: Scale by BPE
s_add_u32  s[sgprSrdD+0], s[sgprSrdD+0], s54       // incToNextRow: gra SRD += inc(lower)
s_addc_u32  s[sgprSrdD+1], s[sgprSrdD+1], 0        // incToNextRow: gra SRD += inc(upper)
_buffer_store_b32 v76, v58, s[sgprSrdD:sgprSrdD+3], 0, offen, offset:0,  sc1 // store D

s_waitcnt vmcnt(23)                                // wait C (interleaved) 23 = 24 - 6 + 6 - 1
v_lshlrev_b32 v52, 16, v78                         // convert bf16 to fp32
_v_mac_f32 v[vgprValuC+80], v52, s[sgprBeta]       // finalSum = sum*alpha + C*beta
v_and_b32 v52, v78, v55                            // convert bf16 to fp32
_v_mac_f32 v[vgprValuC+81], v52, s[sgprBeta]       // finalSum = sum*alpha + C*beta
v_cmp_u_f32 s[54:55], v[vgprValuC+80], v[vgprValuC+80] // check Nan
v_bfe_u32 v54, v[vgprValuC+80], 16, 1              // Non-Nan case: store lsb of bf16
v_add3_u32 v54, v[vgprValuC+80], v54, v57          // Non-Nan case: add lsb and the increment for rounding
v_cndmask_b32 v[vgprValuC+80], v54, v56, s[54:55]  // 
v_lshrrev_b32 v[vgprValuC+80], 16, v[vgprValuC+80] // convert C to bf16
v_cmp_u_f32 s[54:55], v[vgprValuC+81], v[vgprValuC+81] // check Nan
v_bfe_u32 v54, v[vgprValuC+81], 16, 1              // Non-Nan case: store lsb of bf16
v_add3_u32 v54, v[vgprValuC+81], v54, v57          // Non-Nan case: add lsb and the increment for rounding
v_cndmask_b32 v[vgprValuC+81], v54, v56, s[54:55]  // 
v_and_or_b32 v80, v[vgprValuC+81], v55, v[vgprValuC+80] // pack two bf16 to dword
s_lshl_b32  s54, s[sgprStrideD1J], 1               // incToNextRow: Scale by BPE
	;; [unrolled: 20-line block ×3, first 2 shown]
s_add_u32  s[sgprSrdD+0], s[sgprSrdD+0], s54       // incToNextRow: gra SRD += inc(lower)
s_addc_u32  s[sgprSrdD+1], s[sgprSrdD+1], 0        // incToNextRow: gra SRD += inc(upper)
_buffer_store_b32 v82, v58, s[sgprSrdD:sgprSrdD+3], 0, offen, offset:0,  sc1 // store D

s_waitcnt vmcnt(23)                                // wait C (interleaved) 23 = 24 - 8 + 8 - 1
v_lshlrev_b32 v52, 16, v84                         // convert bf16 to fp32
_v_mac_f32 v[vgprValuC+86], v52, s[sgprBeta]       // finalSum = sum*alpha + C*beta
v_and_b32 v52, v84, v55                            // convert bf16 to fp32
_v_mac_f32 v[vgprValuC+87], v52, s[sgprBeta]       // finalSum = sum*alpha + C*beta
v_cmp_u_f32 s[54:55], v[vgprValuC+86], v[vgprValuC+86] // check Nan
v_bfe_u32 v54, v[vgprValuC+86], 16, 1              // Non-Nan case: store lsb of bf16
v_add3_u32 v54, v[vgprValuC+86], v54, v57          // Non-Nan case: add lsb and the increment for rounding
v_cndmask_b32 v[vgprValuC+86], v54, v56, s[54:55]  // 
v_lshrrev_b32 v[vgprValuC+86], 16, v[vgprValuC+86] // convert C to bf16
v_cmp_u_f32 s[54:55], v[vgprValuC+87], v[vgprValuC+87] // check Nan
v_bfe_u32 v54, v[vgprValuC+87], 16, 1              // Non-Nan case: store lsb of bf16
v_add3_u32 v54, v[vgprValuC+87], v54, v57          // Non-Nan case: add lsb and the increment for rounding
v_cndmask_b32 v[vgprValuC+87], v54, v56, s[54:55]  // 
v_and_or_b32 v86, v[vgprValuC+87], v55, v[vgprValuC+86] // pack two bf16 to dword
s_mul_i32 s54, s[sgprStrideD1J], 58                // scale StrideD *= numRows(29) * bpe
s_add_u32  s[sgprSrdD+0], s[sgprSrdD+0], s54       // incToNextRow: gra SRD += inc(lower)
s_addc_u32  s[sgprSrdD+1], s[sgprSrdD+1], 0        // incToNextRow: gra SRD += inc(upper)
_buffer_store_b32 v86, v58, s[sgprSrdD:sgprSrdD+3], 0, offen, offset:0,  sc1 // store D

s_waitcnt vmcnt(23)                                // wait C (interleaved) 23 = 24 - 9 + 9 - 1
v_lshlrev_b32 v52, 16, v85                         // convert bf16 to fp32
_v_mac_f32 v[vgprValuC+88], v52, s[sgprBeta]       // finalSum = sum*alpha + C*beta
v_and_b32 v52, v85, v55                            // convert bf16 to fp32
_v_mac_f32 v[vgprValuC+89], v52, s[sgprBeta]       // finalSum = sum*alpha + C*beta
v_cmp_u_f32 s[54:55], v[vgprValuC+88], v[vgprValuC+88] // check Nan
v_bfe_u32 v54, v[vgprValuC+88], 16, 1              // Non-Nan case: store lsb of bf16
v_add3_u32 v54, v[vgprValuC+88], v54, v57          // Non-Nan case: add lsb and the increment for rounding
v_cndmask_b32 v[vgprValuC+88], v54, v56, s[54:55]  // 
v_lshrrev_b32 v[vgprValuC+88], 16, v[vgprValuC+88] // convert C to bf16
v_cmp_u_f32 s[54:55], v[vgprValuC+89], v[vgprValuC+89] // check Nan
v_bfe_u32 v54, v[vgprValuC+89], 16, 1              // Non-Nan case: store lsb of bf16
v_add3_u32 v54, v[vgprValuC+89], v54, v57          // Non-Nan case: add lsb and the increment for rounding
v_cndmask_b32 v[vgprValuC+89], v54, v56, s[54:55]  // 
v_and_or_b32 v88, v[vgprValuC+89], v55, v[vgprValuC+88] // pack two bf16 to dword
s_lshl_b32  s54, s[sgprStrideD1J], 1               // incToNextRow: Scale by BPE
s_add_u32  s[sgprSrdD+0], s[sgprSrdD+0], s54       // incToNextRow: gra SRD += inc(lower)
s_addc_u32  s[sgprSrdD+1], s[sgprSrdD+1], 0        // incToNextRow: gra SRD += inc(upper)
_buffer_store_b32 v88, v58, s[sgprSrdD:sgprSrdD+3], 0, offen, offset:0,  sc1 // store D

s_waitcnt vmcnt(23)                                // wait C (interleaved) 23 = 24 - 10 + 10 - 1
v_lshlrev_b32 v52, 16, v90                         // convert bf16 to fp32
_v_mac_f32 v[vgprValuC+92], v52, s[sgprBeta]       // finalSum = sum*alpha + C*beta
v_and_b32 v52, v90, v55                            // convert bf16 to fp32
_v_mac_f32 v[vgprValuC+93], v52, s[sgprBeta]       // finalSum = sum*alpha + C*beta
v_cmp_u_f32 s[54:55], v[vgprValuC+92], v[vgprValuC+92] // check Nan
v_bfe_u32 v54, v[vgprValuC+92], 16, 1              // Non-Nan case: store lsb of bf16
v_add3_u32 v54, v[vgprValuC+92], v54, v57          // Non-Nan case: add lsb and the increment for rounding
v_cndmask_b32 v[vgprValuC+92], v54, v56, s[54:55]  // 
v_lshrrev_b32 v[vgprValuC+92], 16, v[vgprValuC+92] // convert C to bf16
v_cmp_u_f32 s[54:55], v[vgprValuC+93], v[vgprValuC+93] // check Nan
v_bfe_u32 v54, v[vgprValuC+93], 16, 1              // Non-Nan case: store lsb of bf16
v_add3_u32 v54, v[vgprValuC+93], v54, v57          // Non-Nan case: add lsb and the increment for rounding
v_cndmask_b32 v[vgprValuC+93], v54, v56, s[54:55]  // 
v_and_or_b32 v92, v[vgprValuC+93], v55, v[vgprValuC+92] // pack two bf16 to dword
s_lshl_b32  s54, s[sgprStrideD1J], 1               // incToNextRow: Scale by BPE
	;; [unrolled: 20-line block ×3, first 2 shown]
s_add_u32  s[sgprSrdD+0], s[sgprSrdD+0], s54       // incToNextRow: gra SRD += inc(lower)
s_addc_u32  s[sgprSrdD+1], s[sgprSrdD+1], 0        // incToNextRow: gra SRD += inc(upper)
_buffer_store_b32 v94, v58, s[sgprSrdD:sgprSrdD+3], 0, offen, offset:0,  sc1 // store D

s_waitcnt vmcnt(23)                                // wait C (interleaved) 23 = 24 - 12 + 12 - 1
v_lshlrev_b32 v52, 16, v96                         // convert bf16 to fp32
_v_mac_f32 v[vgprValuC+98], v52, s[sgprBeta]       // finalSum = sum*alpha + C*beta
v_and_b32 v52, v96, v55                            // convert bf16 to fp32
_v_mac_f32 v[vgprValuC+99], v52, s[sgprBeta]       // finalSum = sum*alpha + C*beta
v_cmp_u_f32 s[54:55], v[vgprValuC+98], v[vgprValuC+98] // check Nan
v_bfe_u32 v54, v[vgprValuC+98], 16, 1              // Non-Nan case: store lsb of bf16
v_add3_u32 v54, v[vgprValuC+98], v54, v57          // Non-Nan case: add lsb and the increment for rounding
v_cndmask_b32 v[vgprValuC+98], v54, v56, s[54:55]  // 
v_lshrrev_b32 v[vgprValuC+98], 16, v[vgprValuC+98] // convert C to bf16
v_cmp_u_f32 s[54:55], v[vgprValuC+99], v[vgprValuC+99] // check Nan
v_bfe_u32 v54, v[vgprValuC+99], 16, 1              // Non-Nan case: store lsb of bf16
v_add3_u32 v54, v[vgprValuC+99], v54, v57          // Non-Nan case: add lsb and the increment for rounding
v_cndmask_b32 v[vgprValuC+99], v54, v56, s[54:55]  // 
v_and_or_b32 v98, v[vgprValuC+99], v55, v[vgprValuC+98] // pack two bf16 to dword
s_mul_i32 s54, s[sgprStrideD1J], 58                // scale StrideD *= numRows(29) * bpe
s_add_u32  s[sgprSrdD+0], s[sgprSrdD+0], s54       // incToNextRow: gra SRD += inc(lower)
s_addc_u32  s[sgprSrdD+1], s[sgprSrdD+1], 0        // incToNextRow: gra SRD += inc(upper)
_buffer_store_b32 v98, v58, s[sgprSrdD:sgprSrdD+3], 0, offen, offset:0,  sc1 // store D

s_waitcnt vmcnt(23)                                // wait C (interleaved) 23 = 24 - 13 + 13 - 1
v_lshlrev_b32 v52, 16, v97                         // convert bf16 to fp32
_v_mac_f32 v[vgprValuC+100], v52, s[sgprBeta]      // finalSum = sum*alpha + C*beta
v_and_b32 v52, v97, v55                            // convert bf16 to fp32
_v_mac_f32 v[vgprValuC+101], v52, s[sgprBeta]      // finalSum = sum*alpha + C*beta
v_cmp_u_f32 s[54:55], v[vgprValuC+100], v[vgprValuC+100] // check Nan
v_bfe_u32 v54, v[vgprValuC+100], 16, 1             // Non-Nan case: store lsb of bf16
v_add3_u32 v54, v[vgprValuC+100], v54, v57         // Non-Nan case: add lsb and the increment for rounding
v_cndmask_b32 v[vgprValuC+100], v54, v56, s[54:55] // 
v_lshrrev_b32 v[vgprValuC+100], 16, v[vgprValuC+100] // convert C to bf16
v_cmp_u_f32 s[54:55], v[vgprValuC+101], v[vgprValuC+101] // check Nan
v_bfe_u32 v54, v[vgprValuC+101], 16, 1             // Non-Nan case: store lsb of bf16
v_add3_u32 v54, v[vgprValuC+101], v54, v57         // Non-Nan case: add lsb and the increment for rounding
v_cndmask_b32 v[vgprValuC+101], v54, v56, s[54:55] // 
v_and_or_b32 v100, v[vgprValuC+101], v55, v[vgprValuC+100] // pack two bf16 to dword
s_lshl_b32  s54, s[sgprStrideD1J], 1               // incToNextRow: Scale by BPE
s_add_u32  s[sgprSrdD+0], s[sgprSrdD+0], s54       // incToNextRow: gra SRD += inc(lower)
s_addc_u32  s[sgprSrdD+1], s[sgprSrdD+1], 0        // incToNextRow: gra SRD += inc(upper)
_buffer_store_b32 v100, v58, s[sgprSrdD:sgprSrdD+3], 0, offen, offset:0,  sc1 // store D

s_waitcnt vmcnt(23)                                // wait C (interleaved) 23 = 24 - 14 + 14 - 1
v_lshlrev_b32 v52, 16, v102                        // convert bf16 to fp32
_v_mac_f32 v[vgprValuC+104], v52, s[sgprBeta]      // finalSum = sum*alpha + C*beta
v_and_b32 v52, v102, v55                           // convert bf16 to fp32
_v_mac_f32 v[vgprValuC+105], v52, s[sgprBeta]      // finalSum = sum*alpha + C*beta
v_cmp_u_f32 s[54:55], v[vgprValuC+104], v[vgprValuC+104] // check Nan
v_bfe_u32 v54, v[vgprValuC+104], 16, 1             // Non-Nan case: store lsb of bf16
v_add3_u32 v54, v[vgprValuC+104], v54, v57         // Non-Nan case: add lsb and the increment for rounding
v_cndmask_b32 v[vgprValuC+104], v54, v56, s[54:55] // 
v_lshrrev_b32 v[vgprValuC+104], 16, v[vgprValuC+104] // convert C to bf16
v_cmp_u_f32 s[54:55], v[vgprValuC+105], v[vgprValuC+105] // check Nan
v_bfe_u32 v54, v[vgprValuC+105], 16, 1             // Non-Nan case: store lsb of bf16
v_add3_u32 v54, v[vgprValuC+105], v54, v57         // Non-Nan case: add lsb and the increment for rounding
v_cndmask_b32 v[vgprValuC+105], v54, v56, s[54:55] // 
v_and_or_b32 v104, v[vgprValuC+105], v55, v[vgprValuC+104] // pack two bf16 to dword
s_lshl_b32  s54, s[sgprStrideD1J], 1               // incToNextRow: Scale by BPE
s_add_u32  s[sgprSrdD+0], s[sgprSrdD+0], s54       // incToNextRow: gra SRD += inc(lower)
s_addc_u32  s[sgprSrdD+1], s[sgprSrdD+1], 0        // incToNextRow: gra SRD += inc(upper)
_buffer_store_b32 v104, v58, s[sgprSrdD:sgprSrdD+3], 0, offen, offset:0,  sc1 // store D

s_waitcnt vmcnt(23)                                // wait C (interleaved) 23 = 24 - 15 + 15 - 1
v_lshlrev_b32 v52, 16, v103                        // convert bf16 to fp32
_v_mac_f32 v[vgprValuC+106], v52, s[sgprBeta]      // finalSum = sum*alpha + C*beta
v_and_b32 v52, v103, v55                           // convert bf16 to fp32
	;; [unrolled: 20-line block ×3, first 2 shown]
_v_mac_f32 v[vgprValuC+111], v52, s[sgprBeta]      // finalSum = sum*alpha + C*beta
v_cmp_u_f32 s[54:55], v[vgprValuC+110], v[vgprValuC+110] // check Nan
v_bfe_u32 v54, v[vgprValuC+110], 16, 1             // Non-Nan case: store lsb of bf16
v_add3_u32 v54, v[vgprValuC+110], v54, v57         // Non-Nan case: add lsb and the increment for rounding
v_cndmask_b32 v[vgprValuC+110], v54, v56, s[54:55] // 
v_lshrrev_b32 v[vgprValuC+110], 16, v[vgprValuC+110] // convert C to bf16
v_cmp_u_f32 s[54:55], v[vgprValuC+111], v[vgprValuC+111] // check Nan
v_bfe_u32 v54, v[vgprValuC+111], 16, 1             // Non-Nan case: store lsb of bf16
v_add3_u32 v54, v[vgprValuC+111], v54, v57         // Non-Nan case: add lsb and the increment for rounding
v_cndmask_b32 v[vgprValuC+111], v54, v56, s[54:55] // 
v_and_or_b32 v110, v[vgprValuC+111], v55, v[vgprValuC+110] // pack two bf16 to dword
s_mul_i32 s54, s[sgprStrideD1J], 58                // scale StrideD *= numRows(29) * bpe
s_add_u32  s[sgprSrdD+0], s[sgprSrdD+0], s54       // incToNextRow: gra SRD += inc(lower)
s_addc_u32  s[sgprSrdD+1], s[sgprSrdD+1], 0        // incToNextRow: gra SRD += inc(upper)
_buffer_store_b32 v110, v58, s[sgprSrdD:sgprSrdD+3], 0, offen, offset:0,  sc1 // store D

s_waitcnt vmcnt(23)                                // wait C (interleaved) 23 = 24 - 17 + 17 - 1
v_lshlrev_b32 v52, 16, v109                        // convert bf16 to fp32
_v_mac_f32 v[vgprValuC+112], v52, s[sgprBeta]      // finalSum = sum*alpha + C*beta
v_and_b32 v52, v109, v55                           // convert bf16 to fp32
_v_mac_f32 v[vgprValuC+113], v52, s[sgprBeta]      // finalSum = sum*alpha + C*beta
v_cmp_u_f32 s[54:55], v[vgprValuC+112], v[vgprValuC+112] // check Nan
v_bfe_u32 v54, v[vgprValuC+112], 16, 1             // Non-Nan case: store lsb of bf16
v_add3_u32 v54, v[vgprValuC+112], v54, v57         // Non-Nan case: add lsb and the increment for rounding
v_cndmask_b32 v[vgprValuC+112], v54, v56, s[54:55] // 
v_lshrrev_b32 v[vgprValuC+112], 16, v[vgprValuC+112] // convert C to bf16
v_cmp_u_f32 s[54:55], v[vgprValuC+113], v[vgprValuC+113] // check Nan
v_bfe_u32 v54, v[vgprValuC+113], 16, 1             // Non-Nan case: store lsb of bf16
v_add3_u32 v54, v[vgprValuC+113], v54, v57         // Non-Nan case: add lsb and the increment for rounding
v_cndmask_b32 v[vgprValuC+113], v54, v56, s[54:55] // 
v_and_or_b32 v112, v[vgprValuC+113], v55, v[vgprValuC+112] // pack two bf16 to dword
s_lshl_b32  s54, s[sgprStrideD1J], 1               // incToNextRow: Scale by BPE
s_add_u32  s[sgprSrdD+0], s[sgprSrdD+0], s54       // incToNextRow: gra SRD += inc(lower)
s_addc_u32  s[sgprSrdD+1], s[sgprSrdD+1], 0        // incToNextRow: gra SRD += inc(upper)
_buffer_store_b32 v112, v58, s[sgprSrdD:sgprSrdD+3], 0, offen, offset:0,  sc1 // store D

s_waitcnt vmcnt(23)                                // wait C (interleaved) 23 = 24 - 18 + 18 - 1
v_lshlrev_b32 v52, 16, v114                        // convert bf16 to fp32
_v_mac_f32 v[vgprValuC+116], v52, s[sgprBeta]      // finalSum = sum*alpha + C*beta
v_and_b32 v52, v114, v55                           // convert bf16 to fp32
_v_mac_f32 v[vgprValuC+117], v52, s[sgprBeta]      // finalSum = sum*alpha + C*beta
v_cmp_u_f32 s[54:55], v[vgprValuC+116], v[vgprValuC+116] // check Nan
v_bfe_u32 v54, v[vgprValuC+116], 16, 1             // Non-Nan case: store lsb of bf16
v_add3_u32 v54, v[vgprValuC+116], v54, v57         // Non-Nan case: add lsb and the increment for rounding
v_cndmask_b32 v[vgprValuC+116], v54, v56, s[54:55] // 
v_lshrrev_b32 v[vgprValuC+116], 16, v[vgprValuC+116] // convert C to bf16
v_cmp_u_f32 s[54:55], v[vgprValuC+117], v[vgprValuC+117] // check Nan
v_bfe_u32 v54, v[vgprValuC+117], 16, 1             // Non-Nan case: store lsb of bf16
v_add3_u32 v54, v[vgprValuC+117], v54, v57         // Non-Nan case: add lsb and the increment for rounding
v_cndmask_b32 v[vgprValuC+117], v54, v56, s[54:55] // 
v_and_or_b32 v116, v[vgprValuC+117], v55, v[vgprValuC+116] // pack two bf16 to dword
s_lshl_b32  s54, s[sgprStrideD1J], 1               // incToNextRow: Scale by BPE
s_add_u32  s[sgprSrdD+0], s[sgprSrdD+0], s54       // incToNextRow: gra SRD += inc(lower)
s_addc_u32  s[sgprSrdD+1], s[sgprSrdD+1], 0        // incToNextRow: gra SRD += inc(upper)
_buffer_store_b32 v116, v58, s[sgprSrdD:sgprSrdD+3], 0, offen, offset:0,  sc1 // store D

s_waitcnt vmcnt(23)                                // wait C (interleaved) 23 = 24 - 19 + 19 - 1
v_lshlrev_b32 v52, 16, v115                        // convert bf16 to fp32
_v_mac_f32 v[vgprValuC+118], v52, s[sgprBeta]      // finalSum = sum*alpha + C*beta
v_and_b32 v52, v115, v55                           // convert bf16 to fp32
_v_mac_f32 v[vgprValuC+119], v52, s[sgprBeta]      // finalSum = sum*alpha + C*beta
v_cmp_u_f32 s[54:55], v[vgprValuC+118], v[vgprValuC+118] // check Nan
v_bfe_u32 v54, v[vgprValuC+118], 16, 1             // Non-Nan case: store lsb of bf16
v_add3_u32 v54, v[vgprValuC+118], v54, v57         // Non-Nan case: add lsb and the increment for rounding
v_cndmask_b32 v[vgprValuC+118], v54, v56, s[54:55] // 
v_lshrrev_b32 v[vgprValuC+118], 16, v[vgprValuC+118] // convert C to bf16
v_cmp_u_f32 s[54:55], v[vgprValuC+119], v[vgprValuC+119] // check Nan
v_bfe_u32 v54, v[vgprValuC+119], 16, 1             // Non-Nan case: store lsb of bf16
v_add3_u32 v54, v[vgprValuC+119], v54, v57         // Non-Nan case: add lsb and the increment for rounding
v_cndmask_b32 v[vgprValuC+119], v54, v56, s[54:55] // 
v_and_or_b32 v118, v[vgprValuC+119], v55, v[vgprValuC+118] // pack two bf16 to dword
s_lshl_b32  s54, s[sgprStrideD1J], 1               // incToNextRow: Scale by BPE
s_add_u32  s[sgprSrdD+0], s[sgprSrdD+0], s54       // incToNextRow: gra SRD += inc(lower)
s_addc_u32  s[sgprSrdD+1], s[sgprSrdD+1], 0        // incToNextRow: gra SRD += inc(upper)
_buffer_store_b32 v118, v58, s[sgprSrdD:sgprSrdD+3], 0, offen, offset:0,  sc1 // store D

s_waitcnt vmcnt(23)                                // wait C (interleaved) 23 = 24 - 20 + 20 - 1
v_lshlrev_b32 v52, 16, v120                        // convert bf16 to fp32
_v_mac_f32 v[vgprValuC+122], v52, s[sgprBeta]      // finalSum = sum*alpha + C*beta
v_and_b32 v52, v120, v55                           // convert bf16 to fp32
_v_mac_f32 v[vgprValuC+123], v52, s[sgprBeta]      // finalSum = sum*alpha + C*beta
v_cmp_u_f32 s[54:55], v[vgprValuC+122], v[vgprValuC+122] // check Nan
v_bfe_u32 v54, v[vgprValuC+122], 16, 1             // Non-Nan case: store lsb of bf16
v_add3_u32 v54, v[vgprValuC+122], v54, v57         // Non-Nan case: add lsb and the increment for rounding
v_cndmask_b32 v[vgprValuC+122], v54, v56, s[54:55] // 
v_lshrrev_b32 v[vgprValuC+122], 16, v[vgprValuC+122] // convert C to bf16
v_cmp_u_f32 s[54:55], v[vgprValuC+123], v[vgprValuC+123] // check Nan
v_bfe_u32 v54, v[vgprValuC+123], 16, 1             // Non-Nan case: store lsb of bf16
v_add3_u32 v54, v[vgprValuC+123], v54, v57         // Non-Nan case: add lsb and the increment for rounding
v_cndmask_b32 v[vgprValuC+123], v54, v56, s[54:55] // 
v_and_or_b32 v122, v[vgprValuC+123], v55, v[vgprValuC+122] // pack two bf16 to dword
s_mul_i32 s54, s[sgprStrideD1J], 58                // scale StrideD *= numRows(29) * bpe
s_add_u32  s[sgprSrdD+0], s[sgprSrdD+0], s54       // incToNextRow: gra SRD += inc(lower)
s_addc_u32  s[sgprSrdD+1], s[sgprSrdD+1], 0        // incToNextRow: gra SRD += inc(upper)
_buffer_store_b32 v122, v58, s[sgprSrdD:sgprSrdD+3], 0, offen, offset:0,  sc1 // store D

s_waitcnt vmcnt(23)                                // wait C (interleaved) 23 = 24 - 21 + 21 - 1
v_lshlrev_b32 v52, 16, v121                        // convert bf16 to fp32
_v_mac_f32 v[vgprValuC+124], v52, s[sgprBeta]      // finalSum = sum*alpha + C*beta
v_and_b32 v52, v121, v55                           // convert bf16 to fp32
_v_mac_f32 v[vgprValuC+125], v52, s[sgprBeta]      // finalSum = sum*alpha + C*beta
v_cmp_u_f32 s[54:55], v[vgprValuC+124], v[vgprValuC+124] // check Nan
v_bfe_u32 v54, v[vgprValuC+124], 16, 1             // Non-Nan case: store lsb of bf16
v_add3_u32 v54, v[vgprValuC+124], v54, v57         // Non-Nan case: add lsb and the increment for rounding
v_cndmask_b32 v[vgprValuC+124], v54, v56, s[54:55] // 
v_lshrrev_b32 v[vgprValuC+124], 16, v[vgprValuC+124] // convert C to bf16
v_cmp_u_f32 s[54:55], v[vgprValuC+125], v[vgprValuC+125] // check Nan
v_bfe_u32 v54, v[vgprValuC+125], 16, 1             // Non-Nan case: store lsb of bf16
v_add3_u32 v54, v[vgprValuC+125], v54, v57         // Non-Nan case: add lsb and the increment for rounding
v_cndmask_b32 v[vgprValuC+125], v54, v56, s[54:55] // 
v_and_or_b32 v124, v[vgprValuC+125], v55, v[vgprValuC+124] // pack two bf16 to dword
s_lshl_b32  s54, s[sgprStrideD1J], 1               // incToNextRow: Scale by BPE
s_add_u32  s[sgprSrdD+0], s[sgprSrdD+0], s54       // incToNextRow: gra SRD += inc(lower)
s_addc_u32  s[sgprSrdD+1], s[sgprSrdD+1], 0        // incToNextRow: gra SRD += inc(upper)
_buffer_store_b32 v124, v58, s[sgprSrdD:sgprSrdD+3], 0, offen, offset:0,  sc1 // store D

s_waitcnt vmcnt(23)                                // wait C (interleaved) 23 = 24 - 22 + 22 - 1
v_lshlrev_b32 v52, 16, v126                        // convert bf16 to fp32
_v_mac_f32 v[vgprValuC+128], v52, s[sgprBeta]      // finalSum = sum*alpha + C*beta
v_and_b32 v52, v126, v55                           // convert bf16 to fp32
_v_mac_f32 v[vgprValuC+129], v52, s[sgprBeta]      // finalSum = sum*alpha + C*beta
v_cmp_u_f32 s[54:55], v[vgprValuC+128], v[vgprValuC+128] // check Nan
v_bfe_u32 v54, v[vgprValuC+128], 16, 1             // Non-Nan case: store lsb of bf16
v_add3_u32 v54, v[vgprValuC+128], v54, v57         // Non-Nan case: add lsb and the increment for rounding
v_cndmask_b32 v[vgprValuC+128], v54, v56, s[54:55] // 
v_lshrrev_b32 v[vgprValuC+128], 16, v[vgprValuC+128] // convert C to bf16
v_cmp_u_f32 s[54:55], v[vgprValuC+129], v[vgprValuC+129] // check Nan
v_bfe_u32 v54, v[vgprValuC+129], 16, 1             // Non-Nan case: store lsb of bf16
v_add3_u32 v54, v[vgprValuC+129], v54, v57         // Non-Nan case: add lsb and the increment for rounding
v_cndmask_b32 v[vgprValuC+129], v54, v56, s[54:55] // 
v_and_or_b32 v128, v[vgprValuC+129], v55, v[vgprValuC+128] // pack two bf16 to dword
s_lshl_b32  s54, s[sgprStrideD1J], 1               // incToNextRow: Scale by BPE
	;; [unrolled: 20-line block ×3, first 2 shown]
s_add_u32  s[sgprSrdD+0], s[sgprSrdD+0], s54       // incToNextRow: gra SRD += inc(lower)
s_addc_u32  s[sgprSrdD+1], s[sgprSrdD+1], 0        // incToNextRow: gra SRD += inc(upper)
_buffer_store_b32 v130, v58, s[sgprSrdD:sgprSrdD+3], 0, offen, offset:0,  sc1 // store D
s_nop 0                                            // 1 wait state required when next inst writes vgprs held by previous dwordx4 store inst
s_branch label_GW_End_68                           // jump to end
GW_B1_E1_67:

/* edge=1, allocate 6 sgpr. perBatchTmpS=4 perBatchMaskS=2 perElementMaskS=0 elementsPerBatch=64 */
/* optSingleColVgpr=0 optSharedColVgpr=0 optSGPRUsage=BufferLoad_Edge_Mask optSrdIncForRow=0 */

/******************************************/
/* Global Write Alpha Beta Edge Batch #0 (d1,d0,vc1,vc0) = */
/*    (0,0,0,0:vw1); (0,0,0,1:vw1); (0,0,1,0:vw1); (0,0,1,1:vw1); (0,0,2,0:vw1); (0,0,2,1:vw1); (0,0,3,0:vw1); (0,0,3,1:vw1); (1,0,0,0:vw1); (1,0,0,1:vw1); (1,0,1,0:vw1); (1,0,1,1:vw1); (1,0,2,0:vw1); (1,0,2,1:vw1); (1,0,3,0:vw1); (1,0,3,1:vw1); (2,0,0,0:vw1); (2,0,0,1:vw1); (2,0,1,0:vw1); (2,0,1,1:vw1); (2,0,2,0:vw1); (2,0,2,1:vw1); (2,0,3,0:vw1); (2,0,3,1:vw1); (3,0,0,0:vw1); (3,0,0,1:vw1); (3,0,1,0:vw1); (3,0,1,1:vw1); (3,0,2,0:vw1); (3,0,2,1:vw1); (3,0,3,0:vw1); (3,0,3,1:vw1); (4,0,0,0:vw1); (4,0,0,1:vw1); (4,0,1,0:vw1); (4,0,1,1:vw1); (4,0,2,0:vw1); (4,0,2,1:vw1); (4,0,3,0:vw1); (4,0,3,1:vw1); (5,0,0,0:vw1); (5,0,0,1:vw1); (5,0,1,0:vw1); (5,0,1,1:vw1); (5,0,2,0:vw1); (5,0,2,1:vw1); (5,0,3,0:vw1); (5,0,3,1:vw1) */
/******************************************/

/* calc coords, apply mask, and issue loads (if necessary) */

/* rC *= alpha batchElements=[(0, 0, 0, 0), (0, 0, 0, 1), (0, 0, 1, 0), (0, 0, 1, 1), (0, 0, 2, 0), (0, 0, 2, 1), (0, 0, 3, 0), (0, 0, 3, 1), (1, 0, 0, 0), (1, 0, 0, 1), (1, 0, 1, 0), (1, 0, 1, 1), (1, 0, 2, 0), (1, 0, 2, 1), (1, 0, 3, 0), (1, 0, 3, 1), (2, 0, 0, 0), (2, 0, 0, 1), (2, 0, 1, 0), (2, 0, 1, 1), (2, 0, 2, 0), (2, 0, 2, 1), (2, 0, 3, 0), (2, 0, 3, 1), (3, 0, 0, 0), (3, 0, 0, 1), (3, 0, 1, 0), (3, 0, 1, 1), (3, 0, 2, 0), (3, 0, 2, 1), (3, 0, 3, 0), (3, 0, 3, 1), (4, 0, 0, 0), (4, 0, 0, 1), (4, 0, 1, 0), (4, 0, 1, 1), (4, 0, 2, 0), (4, 0, 2, 1), (4, 0, 3, 0), (4, 0, 3, 1), (5, 0, 0, 0), (5, 0, 0, 1), (5, 0, 1, 0), (5, 0, 1, 1), (5, 0, 2, 0), (5, 0, 2, 1), (5, 0, 3, 0), (5, 0, 3, 1)] */
v_mul_f32 v[vgprValuC+60], s[sgprAlpha], v[vgprValuC+0] // Multiply MI out reg with alpha
v_mul_f32 v[vgprValuC+63], s[sgprAlpha], v[vgprValuC+4] // Multiply MI out reg with alpha
	;; [unrolled: 1-line block ×48, first 2 shown]
/* (d1,vc1,d0,vc0)=(0,0,0,0) */
v_cmp_lt_u32 s[54:55], v48, s[sgprSizeI]           // coord0 < size0
v_cmp_lt_u32 s[58:59], v49, s[sgprSizeJ]           // coord1 < size1
s_and_b64 s[58:59], s[54:55], s[58:59]             // in0 && in1
_v_add_lshl_u32 v58, v50, v48, 0x1                 // scaleToBpe: accumulate d0 lower and *= bpe into Cin addr
v_cndmask_b32 v58, -1, v58, s[58:59]               // LDC clip if OOB. offset
_buffer_load_d16_b16 v59, v58, s[sgprSrdC:sgprSrdC+3], 0, offen offset:0,  sc1 // load C for beta calc
_v_add_lshl_u32 v58, v51, v48, 0x1                 // scaleToBpe: accumulate d0 lower and *= bpe into Cin addr
v_cndmask_b32 v58, -1, v58, s[58:59]               // LDD clip if OOB. offset
/* (d1,vc1,d0,vc0)=(0,0,0,1) */
_v_add_co_u32 v52, vcc, v48, 1                     // coord0.1: coord0 += d0*sg0*VW + vc0
v_cmp_lt_u32 s[54:55], v52, s[sgprSizeI]           // coord0 < size0
v_cmp_lt_u32 s[58:59], v49, s[sgprSizeJ]           // coord1 < size1
s_and_b64 s[58:59], s[54:55], s[58:59]             // in0 && in1
_v_add_lshl_u32 v61, v50, v52, 0x1                 // scaleToBpe: accumulate d0 lower and *= bpe into Cin addr
v_cndmask_b32 v61, -1, v61, s[58:59]               // LDC clip if OOB. offset
_buffer_load_d16_b16 v62, v61, s[sgprSrdC:sgprSrdC+3], 0, offen offset:0,  sc1 // load C for beta calc
_v_add_lshl_u32 v61, v51, v52, 0x1                 // scaleToBpe: accumulate d0 lower and *= bpe into Cin addr
v_cndmask_b32 v61, -1, v61, s[58:59]               // LDD clip if OOB. offset
/* (d1,vc1,d0,vc0)=(0,1,0,0) */
_v_add_co_u32 v49, vcc, v49, 1                     // coord1.1: coord1Vgpr += d1*sg1*VW + vc1

/* Fix for UseInitialStridesCD, emitAddressSetupCode */
_v_add_u32 v50, v50, s[sgprStrideC1J]              // ROWINC- Move cinRowPtr to next row
_v_add_u32 v51, v51, s[sgprStrideD1J]              // Move coutRowPtr to next row
v_cmp_lt_u32 s[54:55], v48, s[sgprSizeI]           // coord0 < size0
v_cmp_lt_u32 s[58:59], v49, s[sgprSizeJ]           // coord1 < size1
s_and_b64 s[58:59], s[54:55], s[58:59]             // in0 && in1
_v_add_lshl_u32 v64, v50, v48, 0x1                 // scaleToBpe: accumulate d0 lower and *= bpe into Cin addr
v_cndmask_b32 v64, -1, v64, s[58:59]               // LDC clip if OOB. offset
_buffer_load_d16_b16 v65, v64, s[sgprSrdC:sgprSrdC+3], 0, offen offset:0,  sc1 // load C for beta calc
_v_add_lshl_u32 v64, v51, v48, 0x1                 // scaleToBpe: accumulate d0 lower and *= bpe into Cin addr
v_cndmask_b32 v64, -1, v64, s[58:59]               // LDD clip if OOB. offset
/* (d1,vc1,d0,vc0)=(0,1,0,1) */
_v_add_co_u32 v52, vcc, v48, 1                     // coord0.1: coord0 += d0*sg0*VW + vc0
v_cmp_lt_u32 s[54:55], v52, s[sgprSizeI]           // coord0 < size0
v_cmp_lt_u32 s[58:59], v49, s[sgprSizeJ]           // coord1 < size1
s_and_b64 s[58:59], s[54:55], s[58:59]             // in0 && in1
_v_add_lshl_u32 v67, v50, v52, 0x1                 // scaleToBpe: accumulate d0 lower and *= bpe into Cin addr
v_cndmask_b32 v67, -1, v67, s[58:59]               // LDC clip if OOB. offset
_buffer_load_d16_b16 v68, v67, s[sgprSrdC:sgprSrdC+3], 0, offen offset:0,  sc1 // load C for beta calc
_v_add_lshl_u32 v67, v51, v52, 0x1                 // scaleToBpe: accumulate d0 lower and *= bpe into Cin addr
v_cndmask_b32 v67, -1, v67, s[58:59]               // LDD clip if OOB. offset
/* (d1,vc1,d0,vc0)=(0,2,0,0) */
_v_add_co_u32 v49, vcc, v49, 1                     // coord1.1: coord1Vgpr += d1*sg1*VW + vc1

/* Fix for UseInitialStridesCD, emitAddressSetupCode */
_v_add_u32 v50, v50, s[sgprStrideC1J]              // ROWINC- Move cinRowPtr to next row
_v_add_u32 v51, v51, s[sgprStrideD1J]              // Move coutRowPtr to next row
	;; [unrolled: 24-line block ×3, first 2 shown]
v_cmp_lt_u32 s[54:55], v48, s[sgprSizeI]           // coord0 < size0
v_cmp_lt_u32 s[58:59], v49, s[sgprSizeJ]           // coord1 < size1
s_and_b64 s[58:59], s[54:55], s[58:59]             // in0 && in1
_v_add_lshl_u32 v76, v50, v48, 0x1                 // scaleToBpe: accumulate d0 lower and *= bpe into Cin addr
v_cndmask_b32 v76, -1, v76, s[58:59]               // LDC clip if OOB. offset
_buffer_load_d16_b16 v77, v76, s[sgprSrdC:sgprSrdC+3], 0, offen offset:0,  sc1 // load C for beta calc
_v_add_lshl_u32 v76, v51, v48, 0x1                 // scaleToBpe: accumulate d0 lower and *= bpe into Cin addr
v_cndmask_b32 v76, -1, v76, s[58:59]               // LDD clip if OOB. offset
/* (d1,vc1,d0,vc0)=(0,3,0,1) */
_v_add_co_u32 v52, vcc, v48, 1                     // coord0.1: coord0 += d0*sg0*VW + vc0
v_cmp_lt_u32 s[54:55], v52, s[sgprSizeI]           // coord0 < size0
v_cmp_lt_u32 s[58:59], v49, s[sgprSizeJ]           // coord1 < size1
s_and_b64 s[58:59], s[54:55], s[58:59]             // in0 && in1
_v_add_lshl_u32 v79, v50, v52, 0x1                 // scaleToBpe: accumulate d0 lower and *= bpe into Cin addr
v_cndmask_b32 v79, -1, v79, s[58:59]               // LDC clip if OOB. offset
_buffer_load_d16_b16 v80, v79, s[sgprSrdC:sgprSrdC+3], 0, offen offset:0,  sc1 // load C for beta calc
_v_add_lshl_u32 v79, v51, v52, 0x1                 // scaleToBpe: accumulate d0 lower and *= bpe into Cin addr
v_cndmask_b32 v79, -1, v79, s[58:59]               // LDD clip if OOB. offset
/* (d1,vc1,d0,vc0)=(1,0,0,0) */
_v_add_co_u32 v49, vcc, v49, 29                    // coord1.1: coord1Vgpr += d1*sg1*VW + vc1

/* Fix for UseInitialStridesCD, emitAddressSetupCode */
s_mul_i32 s54, s[sgprStrideC1J], 29                // scale stride
_v_add_u32 v50, v50, s54                           // ROWINC- Move cinRowPtr to next row
s_mul_i32 s54, s[sgprStrideD1J], 29                // scale stride
_v_add_u32 v51, v51, s54                           // Move coutRowPtr to next row
v_cmp_lt_u32 s[54:55], v48, s[sgprSizeI]           // coord0 < size0
v_cmp_lt_u32 s[58:59], v49, s[sgprSizeJ]           // coord1 < size1
s_and_b64 s[58:59], s[54:55], s[58:59]             // in0 && in1
_v_add_lshl_u32 v82, v50, v48, 0x1                 // scaleToBpe: accumulate d0 lower and *= bpe into Cin addr
v_cndmask_b32 v82, -1, v82, s[58:59]               // LDC clip if OOB. offset
_buffer_load_d16_b16 v83, v82, s[sgprSrdC:sgprSrdC+3], 0, offen offset:0,  sc1 // load C for beta calc
_v_add_lshl_u32 v82, v51, v48, 0x1                 // scaleToBpe: accumulate d0 lower and *= bpe into Cin addr
v_cndmask_b32 v82, -1, v82, s[58:59]               // LDD clip if OOB. offset
/* (d1,vc1,d0,vc0)=(1,0,0,1) */
_v_add_co_u32 v52, vcc, v48, 1                     // coord0.1: coord0 += d0*sg0*VW + vc0
v_cmp_lt_u32 s[54:55], v52, s[sgprSizeI]           // coord0 < size0
v_cmp_lt_u32 s[58:59], v49, s[sgprSizeJ]           // coord1 < size1
s_and_b64 s[58:59], s[54:55], s[58:59]             // in0 && in1
_v_add_lshl_u32 v85, v50, v52, 0x1                 // scaleToBpe: accumulate d0 lower and *= bpe into Cin addr
v_cndmask_b32 v85, -1, v85, s[58:59]               // LDC clip if OOB. offset
_buffer_load_d16_b16 v86, v85, s[sgprSrdC:sgprSrdC+3], 0, offen offset:0,  sc1 // load C for beta calc
_v_add_lshl_u32 v85, v51, v52, 0x1                 // scaleToBpe: accumulate d0 lower and *= bpe into Cin addr
v_cndmask_b32 v85, -1, v85, s[58:59]               // LDD clip if OOB. offset
/* (d1,vc1,d0,vc0)=(1,1,0,0) */
_v_add_co_u32 v49, vcc, v49, 1                     // coord1.1: coord1Vgpr += d1*sg1*VW + vc1

/* Fix for UseInitialStridesCD, emitAddressSetupCode */
_v_add_u32 v50, v50, s[sgprStrideC1J]              // ROWINC- Move cinRowPtr to next row
_v_add_u32 v51, v51, s[sgprStrideD1J]              // Move coutRowPtr to next row
v_cmp_lt_u32 s[54:55], v48, s[sgprSizeI]           // coord0 < size0
v_cmp_lt_u32 s[58:59], v49, s[sgprSizeJ]           // coord1 < size1
s_and_b64 s[58:59], s[54:55], s[58:59]             // in0 && in1
_v_add_lshl_u32 v88, v50, v48, 0x1                 // scaleToBpe: accumulate d0 lower and *= bpe into Cin addr
v_cndmask_b32 v88, -1, v88, s[58:59]               // LDC clip if OOB. offset
_buffer_load_d16_b16 v89, v88, s[sgprSrdC:sgprSrdC+3], 0, offen offset:0,  sc1 // load C for beta calc
_v_add_lshl_u32 v88, v51, v48, 0x1                 // scaleToBpe: accumulate d0 lower and *= bpe into Cin addr
v_cndmask_b32 v88, -1, v88, s[58:59]               // LDD clip if OOB. offset
/* (d1,vc1,d0,vc0)=(1,1,0,1) */
_v_add_co_u32 v52, vcc, v48, 1                     // coord0.1: coord0 += d0*sg0*VW + vc0
v_cmp_lt_u32 s[54:55], v52, s[sgprSizeI]           // coord0 < size0
v_cmp_lt_u32 s[58:59], v49, s[sgprSizeJ]           // coord1 < size1
s_and_b64 s[58:59], s[54:55], s[58:59]             // in0 && in1
_v_add_lshl_u32 v91, v50, v52, 0x1                 // scaleToBpe: accumulate d0 lower and *= bpe into Cin addr
v_cndmask_b32 v91, -1, v91, s[58:59]               // LDC clip if OOB. offset
_buffer_load_d16_b16 v92, v91, s[sgprSrdC:sgprSrdC+3], 0, offen offset:0,  sc1 // load C for beta calc
_v_add_lshl_u32 v91, v51, v52, 0x1                 // scaleToBpe: accumulate d0 lower and *= bpe into Cin addr
v_cndmask_b32 v91, -1, v91, s[58:59]               // LDD clip if OOB. offset
/* (d1,vc1,d0,vc0)=(1,2,0,0) */
_v_add_co_u32 v49, vcc, v49, 1                     // coord1.1: coord1Vgpr += d1*sg1*VW + vc1

/* Fix for UseInitialStridesCD, emitAddressSetupCode */
_v_add_u32 v50, v50, s[sgprStrideC1J]              // ROWINC- Move cinRowPtr to next row
_v_add_u32 v51, v51, s[sgprStrideD1J]              // Move coutRowPtr to next row
	;; [unrolled: 24-line block ×3, first 2 shown]
v_cmp_lt_u32 s[54:55], v48, s[sgprSizeI]           // coord0 < size0
v_cmp_lt_u32 s[58:59], v49, s[sgprSizeJ]           // coord1 < size1
s_and_b64 s[58:59], s[54:55], s[58:59]             // in0 && in1
_v_add_lshl_u32 v100, v50, v48, 0x1                // scaleToBpe: accumulate d0 lower and *= bpe into Cin addr
v_cndmask_b32 v100, -1, v100, s[58:59]             // LDC clip if OOB. offset
_buffer_load_d16_b16 v101, v100, s[sgprSrdC:sgprSrdC+3], 0, offen offset:0,  sc1 // load C for beta calc
_v_add_lshl_u32 v100, v51, v48, 0x1                // scaleToBpe: accumulate d0 lower and *= bpe into Cin addr
v_cndmask_b32 v100, -1, v100, s[58:59]             // LDD clip if OOB. offset
/* (d1,vc1,d0,vc0)=(1,3,0,1) */
_v_add_co_u32 v52, vcc, v48, 1                     // coord0.1: coord0 += d0*sg0*VW + vc0
v_cmp_lt_u32 s[54:55], v52, s[sgprSizeI]           // coord0 < size0
v_cmp_lt_u32 s[58:59], v49, s[sgprSizeJ]           // coord1 < size1
s_and_b64 s[58:59], s[54:55], s[58:59]             // in0 && in1
_v_add_lshl_u32 v103, v50, v52, 0x1                // scaleToBpe: accumulate d0 lower and *= bpe into Cin addr
v_cndmask_b32 v103, -1, v103, s[58:59]             // LDC clip if OOB. offset
_buffer_load_d16_b16 v104, v103, s[sgprSrdC:sgprSrdC+3], 0, offen offset:0,  sc1 // load C for beta calc
_v_add_lshl_u32 v103, v51, v52, 0x1                // scaleToBpe: accumulate d0 lower and *= bpe into Cin addr
v_cndmask_b32 v103, -1, v103, s[58:59]             // LDD clip if OOB. offset
/* (d1,vc1,d0,vc0)=(2,0,0,0) */
_v_add_co_u32 v49, vcc, v49, 29                    // coord1.1: coord1Vgpr += d1*sg1*VW + vc1

/* Fix for UseInitialStridesCD, emitAddressSetupCode */
s_mul_i32 s54, s[sgprStrideC1J], 29                // scale stride
_v_add_u32 v50, v50, s54                           // ROWINC- Move cinRowPtr to next row
s_mul_i32 s54, s[sgprStrideD1J], 29                // scale stride
_v_add_u32 v51, v51, s54                           // Move coutRowPtr to next row
v_cmp_lt_u32 s[54:55], v48, s[sgprSizeI]           // coord0 < size0
v_cmp_lt_u32 s[58:59], v49, s[sgprSizeJ]           // coord1 < size1
s_and_b64 s[58:59], s[54:55], s[58:59]             // in0 && in1
_v_add_lshl_u32 v106, v50, v48, 0x1                // scaleToBpe: accumulate d0 lower and *= bpe into Cin addr
v_cndmask_b32 v106, -1, v106, s[58:59]             // LDC clip if OOB. offset
_buffer_load_d16_b16 v107, v106, s[sgprSrdC:sgprSrdC+3], 0, offen offset:0,  sc1 // load C for beta calc
_v_add_lshl_u32 v106, v51, v48, 0x1                // scaleToBpe: accumulate d0 lower and *= bpe into Cin addr
v_cndmask_b32 v106, -1, v106, s[58:59]             // LDD clip if OOB. offset
/* (d1,vc1,d0,vc0)=(2,0,0,1) */
_v_add_co_u32 v52, vcc, v48, 1                     // coord0.1: coord0 += d0*sg0*VW + vc0
v_cmp_lt_u32 s[54:55], v52, s[sgprSizeI]           // coord0 < size0
v_cmp_lt_u32 s[58:59], v49, s[sgprSizeJ]           // coord1 < size1
s_and_b64 s[58:59], s[54:55], s[58:59]             // in0 && in1
_v_add_lshl_u32 v109, v50, v52, 0x1                // scaleToBpe: accumulate d0 lower and *= bpe into Cin addr
v_cndmask_b32 v109, -1, v109, s[58:59]             // LDC clip if OOB. offset
_buffer_load_d16_b16 v110, v109, s[sgprSrdC:sgprSrdC+3], 0, offen offset:0,  sc1 // load C for beta calc
_v_add_lshl_u32 v109, v51, v52, 0x1                // scaleToBpe: accumulate d0 lower and *= bpe into Cin addr
v_cndmask_b32 v109, -1, v109, s[58:59]             // LDD clip if OOB. offset
/* (d1,vc1,d0,vc0)=(2,1,0,0) */
_v_add_co_u32 v49, vcc, v49, 1                     // coord1.1: coord1Vgpr += d1*sg1*VW + vc1

/* Fix for UseInitialStridesCD, emitAddressSetupCode */
_v_add_u32 v50, v50, s[sgprStrideC1J]              // ROWINC- Move cinRowPtr to next row
_v_add_u32 v51, v51, s[sgprStrideD1J]              // Move coutRowPtr to next row
v_cmp_lt_u32 s[54:55], v48, s[sgprSizeI]           // coord0 < size0
v_cmp_lt_u32 s[58:59], v49, s[sgprSizeJ]           // coord1 < size1
s_and_b64 s[58:59], s[54:55], s[58:59]             // in0 && in1
_v_add_lshl_u32 v112, v50, v48, 0x1                // scaleToBpe: accumulate d0 lower and *= bpe into Cin addr
v_cndmask_b32 v112, -1, v112, s[58:59]             // LDC clip if OOB. offset
_buffer_load_d16_b16 v113, v112, s[sgprSrdC:sgprSrdC+3], 0, offen offset:0,  sc1 // load C for beta calc
_v_add_lshl_u32 v112, v51, v48, 0x1                // scaleToBpe: accumulate d0 lower and *= bpe into Cin addr
v_cndmask_b32 v112, -1, v112, s[58:59]             // LDD clip if OOB. offset
/* (d1,vc1,d0,vc0)=(2,1,0,1) */
_v_add_co_u32 v52, vcc, v48, 1                     // coord0.1: coord0 += d0*sg0*VW + vc0
v_cmp_lt_u32 s[54:55], v52, s[sgprSizeI]           // coord0 < size0
v_cmp_lt_u32 s[58:59], v49, s[sgprSizeJ]           // coord1 < size1
s_and_b64 s[58:59], s[54:55], s[58:59]             // in0 && in1
_v_add_lshl_u32 v115, v50, v52, 0x1                // scaleToBpe: accumulate d0 lower and *= bpe into Cin addr
v_cndmask_b32 v115, -1, v115, s[58:59]             // LDC clip if OOB. offset
_buffer_load_d16_b16 v116, v115, s[sgprSrdC:sgprSrdC+3], 0, offen offset:0,  sc1 // load C for beta calc
_v_add_lshl_u32 v115, v51, v52, 0x1                // scaleToBpe: accumulate d0 lower and *= bpe into Cin addr
v_cndmask_b32 v115, -1, v115, s[58:59]             // LDD clip if OOB. offset
/* (d1,vc1,d0,vc0)=(2,2,0,0) */
_v_add_co_u32 v49, vcc, v49, 1                     // coord1.1: coord1Vgpr += d1*sg1*VW + vc1

/* Fix for UseInitialStridesCD, emitAddressSetupCode */
_v_add_u32 v50, v50, s[sgprStrideC1J]              // ROWINC- Move cinRowPtr to next row
_v_add_u32 v51, v51, s[sgprStrideD1J]              // Move coutRowPtr to next row
	;; [unrolled: 24-line block ×3, first 2 shown]
v_cmp_lt_u32 s[54:55], v48, s[sgprSizeI]           // coord0 < size0
v_cmp_lt_u32 s[58:59], v49, s[sgprSizeJ]           // coord1 < size1
s_and_b64 s[58:59], s[54:55], s[58:59]             // in0 && in1
_v_add_lshl_u32 v124, v50, v48, 0x1                // scaleToBpe: accumulate d0 lower and *= bpe into Cin addr
v_cndmask_b32 v124, -1, v124, s[58:59]             // LDC clip if OOB. offset
_buffer_load_d16_b16 v125, v124, s[sgprSrdC:sgprSrdC+3], 0, offen offset:0,  sc1 // load C for beta calc
_v_add_lshl_u32 v124, v51, v48, 0x1                // scaleToBpe: accumulate d0 lower and *= bpe into Cin addr
v_cndmask_b32 v124, -1, v124, s[58:59]             // LDD clip if OOB. offset
/* (d1,vc1,d0,vc0)=(2,3,0,1) */
_v_add_co_u32 v52, vcc, v48, 1                     // coord0.1: coord0 += d0*sg0*VW + vc0
v_cmp_lt_u32 s[54:55], v52, s[sgprSizeI]           // coord0 < size0
v_cmp_lt_u32 s[58:59], v49, s[sgprSizeJ]           // coord1 < size1
s_and_b64 s[58:59], s[54:55], s[58:59]             // in0 && in1
_v_add_lshl_u32 v127, v50, v52, 0x1                // scaleToBpe: accumulate d0 lower and *= bpe into Cin addr
v_cndmask_b32 v127, -1, v127, s[58:59]             // LDC clip if OOB. offset
_buffer_load_d16_b16 v128, v127, s[sgprSrdC:sgprSrdC+3], 0, offen offset:0,  sc1 // load C for beta calc
_v_add_lshl_u32 v127, v51, v52, 0x1                // scaleToBpe: accumulate d0 lower and *= bpe into Cin addr
v_cndmask_b32 v127, -1, v127, s[58:59]             // LDD clip if OOB. offset
/* (d1,vc1,d0,vc0)=(3,0,0,0) */
_v_add_co_u32 v49, vcc, v49, 29                    // coord1.1: coord1Vgpr += d1*sg1*VW + vc1

/* Fix for UseInitialStridesCD, emitAddressSetupCode */
s_mul_i32 s54, s[sgprStrideC1J], 29                // scale stride
_v_add_u32 v50, v50, s54                           // ROWINC- Move cinRowPtr to next row
s_mul_i32 s54, s[sgprStrideD1J], 29                // scale stride
_v_add_u32 v51, v51, s54                           // Move coutRowPtr to next row
v_cmp_lt_u32 s[54:55], v48, s[sgprSizeI]           // coord0 < size0
v_cmp_lt_u32 s[58:59], v49, s[sgprSizeJ]           // coord1 < size1
s_and_b64 s[58:59], s[54:55], s[58:59]             // in0 && in1
_v_add_lshl_u32 v130, v50, v48, 0x1                // scaleToBpe: accumulate d0 lower and *= bpe into Cin addr
v_cndmask_b32 v130, -1, v130, s[58:59]             // LDC clip if OOB. offset
_buffer_load_d16_b16 v131, v130, s[sgprSrdC:sgprSrdC+3], 0, offen offset:0,  sc1 // load C for beta calc
_v_add_lshl_u32 v130, v51, v48, 0x1                // scaleToBpe: accumulate d0 lower and *= bpe into Cin addr
v_cndmask_b32 v130, -1, v130, s[58:59]             // LDD clip if OOB. offset
/* (d1,vc1,d0,vc0)=(3,0,0,1) */
_v_add_co_u32 v52, vcc, v48, 1                     // coord0.1: coord0 += d0*sg0*VW + vc0
v_cmp_lt_u32 s[54:55], v52, s[sgprSizeI]           // coord0 < size0
v_cmp_lt_u32 s[58:59], v49, s[sgprSizeJ]           // coord1 < size1
s_and_b64 s[58:59], s[54:55], s[58:59]             // in0 && in1
_v_add_lshl_u32 v133, v50, v52, 0x1                // scaleToBpe: accumulate d0 lower and *= bpe into Cin addr
v_cndmask_b32 v133, -1, v133, s[58:59]             // LDC clip if OOB. offset
_buffer_load_d16_b16 v134, v133, s[sgprSrdC:sgprSrdC+3], 0, offen offset:0,  sc1 // load C for beta calc
_v_add_lshl_u32 v133, v51, v52, 0x1                // scaleToBpe: accumulate d0 lower and *= bpe into Cin addr
v_cndmask_b32 v133, -1, v133, s[58:59]             // LDD clip if OOB. offset
/* (d1,vc1,d0,vc0)=(3,1,0,0) */
_v_add_co_u32 v49, vcc, v49, 1                     // coord1.1: coord1Vgpr += d1*sg1*VW + vc1

/* Fix for UseInitialStridesCD, emitAddressSetupCode */
_v_add_u32 v50, v50, s[sgprStrideC1J]              // ROWINC- Move cinRowPtr to next row
_v_add_u32 v51, v51, s[sgprStrideD1J]              // Move coutRowPtr to next row
v_cmp_lt_u32 s[54:55], v48, s[sgprSizeI]           // coord0 < size0
v_cmp_lt_u32 s[58:59], v49, s[sgprSizeJ]           // coord1 < size1
s_and_b64 s[58:59], s[54:55], s[58:59]             // in0 && in1
_v_add_lshl_u32 v136, v50, v48, 0x1                // scaleToBpe: accumulate d0 lower and *= bpe into Cin addr
v_cndmask_b32 v136, -1, v136, s[58:59]             // LDC clip if OOB. offset
_buffer_load_d16_b16 v137, v136, s[sgprSrdC:sgprSrdC+3], 0, offen offset:0,  sc1 // load C for beta calc
_v_add_lshl_u32 v136, v51, v48, 0x1                // scaleToBpe: accumulate d0 lower and *= bpe into Cin addr
v_cndmask_b32 v136, -1, v136, s[58:59]             // LDD clip if OOB. offset
/* (d1,vc1,d0,vc0)=(3,1,0,1) */
_v_add_co_u32 v52, vcc, v48, 1                     // coord0.1: coord0 += d0*sg0*VW + vc0
v_cmp_lt_u32 s[54:55], v52, s[sgprSizeI]           // coord0 < size0
v_cmp_lt_u32 s[58:59], v49, s[sgprSizeJ]           // coord1 < size1
s_and_b64 s[58:59], s[54:55], s[58:59]             // in0 && in1
_v_add_lshl_u32 v139, v50, v52, 0x1                // scaleToBpe: accumulate d0 lower and *= bpe into Cin addr
v_cndmask_b32 v139, -1, v139, s[58:59]             // LDC clip if OOB. offset
_buffer_load_d16_b16 v140, v139, s[sgprSrdC:sgprSrdC+3], 0, offen offset:0,  sc1 // load C for beta calc
_v_add_lshl_u32 v139, v51, v52, 0x1                // scaleToBpe: accumulate d0 lower and *= bpe into Cin addr
v_cndmask_b32 v139, -1, v139, s[58:59]             // LDD clip if OOB. offset
/* (d1,vc1,d0,vc0)=(3,2,0,0) */
_v_add_co_u32 v49, vcc, v49, 1                     // coord1.1: coord1Vgpr += d1*sg1*VW + vc1

/* Fix for UseInitialStridesCD, emitAddressSetupCode */
_v_add_u32 v50, v50, s[sgprStrideC1J]              // ROWINC- Move cinRowPtr to next row
_v_add_u32 v51, v51, s[sgprStrideD1J]              // Move coutRowPtr to next row
	;; [unrolled: 24-line block ×3, first 2 shown]
v_cmp_lt_u32 s[54:55], v48, s[sgprSizeI]           // coord0 < size0
v_cmp_lt_u32 s[58:59], v49, s[sgprSizeJ]           // coord1 < size1
s_and_b64 s[58:59], s[54:55], s[58:59]             // in0 && in1
_v_add_lshl_u32 v148, v50, v48, 0x1                // scaleToBpe: accumulate d0 lower and *= bpe into Cin addr
v_cndmask_b32 v148, -1, v148, s[58:59]             // LDC clip if OOB. offset
_buffer_load_d16_b16 v149, v148, s[sgprSrdC:sgprSrdC+3], 0, offen offset:0,  sc1 // load C for beta calc
_v_add_lshl_u32 v148, v51, v48, 0x1                // scaleToBpe: accumulate d0 lower and *= bpe into Cin addr
v_cndmask_b32 v148, -1, v148, s[58:59]             // LDD clip if OOB. offset
/* (d1,vc1,d0,vc0)=(3,3,0,1) */
_v_add_co_u32 v52, vcc, v48, 1                     // coord0.1: coord0 += d0*sg0*VW + vc0
v_cmp_lt_u32 s[54:55], v52, s[sgprSizeI]           // coord0 < size0
v_cmp_lt_u32 s[58:59], v49, s[sgprSizeJ]           // coord1 < size1
s_and_b64 s[58:59], s[54:55], s[58:59]             // in0 && in1
_v_add_lshl_u32 v151, v50, v52, 0x1                // scaleToBpe: accumulate d0 lower and *= bpe into Cin addr
v_cndmask_b32 v151, -1, v151, s[58:59]             // LDC clip if OOB. offset
_buffer_load_d16_b16 v152, v151, s[sgprSrdC:sgprSrdC+3], 0, offen offset:0,  sc1 // load C for beta calc
_v_add_lshl_u32 v151, v51, v52, 0x1                // scaleToBpe: accumulate d0 lower and *= bpe into Cin addr
v_cndmask_b32 v151, -1, v151, s[58:59]             // LDD clip if OOB. offset
/* (d1,vc1,d0,vc0)=(4,0,0,0) */
_v_add_co_u32 v49, vcc, v49, 29                    // coord1.1: coord1Vgpr += d1*sg1*VW + vc1

/* Fix for UseInitialStridesCD, emitAddressSetupCode */
s_mul_i32 s54, s[sgprStrideC1J], 29                // scale stride
_v_add_u32 v50, v50, s54                           // ROWINC- Move cinRowPtr to next row
s_mul_i32 s54, s[sgprStrideD1J], 29                // scale stride
_v_add_u32 v51, v51, s54                           // Move coutRowPtr to next row
v_cmp_lt_u32 s[54:55], v48, s[sgprSizeI]           // coord0 < size0
v_cmp_lt_u32 s[58:59], v49, s[sgprSizeJ]           // coord1 < size1
s_and_b64 s[58:59], s[54:55], s[58:59]             // in0 && in1
_v_add_lshl_u32 v157, v50, v48, 0x1                // scaleToBpe: accumulate d0 lower and *= bpe into Cin addr
v_cndmask_b32 v157, -1, v157, s[58:59]             // LDC clip if OOB. offset
_buffer_load_d16_b16 v158, v157, s[sgprSrdC:sgprSrdC+3], 0, offen offset:0,  sc1 // load C for beta calc
_v_add_lshl_u32 v157, v51, v48, 0x1                // scaleToBpe: accumulate d0 lower and *= bpe into Cin addr
v_cndmask_b32 v157, -1, v157, s[58:59]             // LDD clip if OOB. offset
/* (d1,vc1,d0,vc0)=(4,0,0,1) */
_v_add_co_u32 v52, vcc, v48, 1                     // coord0.1: coord0 += d0*sg0*VW + vc0
v_cmp_lt_u32 s[54:55], v52, s[sgprSizeI]           // coord0 < size0
v_cmp_lt_u32 s[58:59], v49, s[sgprSizeJ]           // coord1 < size1
s_and_b64 s[58:59], s[54:55], s[58:59]             // in0 && in1
_v_add_lshl_u32 v160, v50, v52, 0x1                // scaleToBpe: accumulate d0 lower and *= bpe into Cin addr
v_cndmask_b32 v160, -1, v160, s[58:59]             // LDC clip if OOB. offset
_buffer_load_d16_b16 v161, v160, s[sgprSrdC:sgprSrdC+3], 0, offen offset:0,  sc1 // load C for beta calc
_v_add_lshl_u32 v160, v51, v52, 0x1                // scaleToBpe: accumulate d0 lower and *= bpe into Cin addr
v_cndmask_b32 v160, -1, v160, s[58:59]             // LDD clip if OOB. offset
/* (d1,vc1,d0,vc0)=(4,1,0,0) */
_v_add_co_u32 v49, vcc, v49, 1                     // coord1.1: coord1Vgpr += d1*sg1*VW + vc1

/* Fix for UseInitialStridesCD, emitAddressSetupCode */
_v_add_u32 v50, v50, s[sgprStrideC1J]              // ROWINC- Move cinRowPtr to next row
_v_add_u32 v51, v51, s[sgprStrideD1J]              // Move coutRowPtr to next row
v_cmp_lt_u32 s[54:55], v48, s[sgprSizeI]           // coord0 < size0
v_cmp_lt_u32 s[58:59], v49, s[sgprSizeJ]           // coord1 < size1
s_and_b64 s[58:59], s[54:55], s[58:59]             // in0 && in1
_v_add_lshl_u32 v163, v50, v48, 0x1                // scaleToBpe: accumulate d0 lower and *= bpe into Cin addr
v_cndmask_b32 v163, -1, v163, s[58:59]             // LDC clip if OOB. offset
_buffer_load_d16_b16 v164, v163, s[sgprSrdC:sgprSrdC+3], 0, offen offset:0,  sc1 // load C for beta calc
_v_add_lshl_u32 v163, v51, v48, 0x1                // scaleToBpe: accumulate d0 lower and *= bpe into Cin addr
v_cndmask_b32 v163, -1, v163, s[58:59]             // LDD clip if OOB. offset
/* (d1,vc1,d0,vc0)=(4,1,0,1) */
_v_add_co_u32 v52, vcc, v48, 1                     // coord0.1: coord0 += d0*sg0*VW + vc0
v_cmp_lt_u32 s[54:55], v52, s[sgprSizeI]           // coord0 < size0
v_cmp_lt_u32 s[58:59], v49, s[sgprSizeJ]           // coord1 < size1
s_and_b64 s[58:59], s[54:55], s[58:59]             // in0 && in1
_v_add_lshl_u32 v166, v50, v52, 0x1                // scaleToBpe: accumulate d0 lower and *= bpe into Cin addr
v_cndmask_b32 v166, -1, v166, s[58:59]             // LDC clip if OOB. offset
_buffer_load_d16_b16 v167, v166, s[sgprSrdC:sgprSrdC+3], 0, offen offset:0,  sc1 // load C for beta calc
_v_add_lshl_u32 v166, v51, v52, 0x1                // scaleToBpe: accumulate d0 lower and *= bpe into Cin addr
v_cndmask_b32 v166, -1, v166, s[58:59]             // LDD clip if OOB. offset
/* (d1,vc1,d0,vc0)=(4,2,0,0) */
_v_add_co_u32 v49, vcc, v49, 1                     // coord1.1: coord1Vgpr += d1*sg1*VW + vc1

/* Fix for UseInitialStridesCD, emitAddressSetupCode */
_v_add_u32 v50, v50, s[sgprStrideC1J]              // ROWINC- Move cinRowPtr to next row
_v_add_u32 v51, v51, s[sgprStrideD1J]              // Move coutRowPtr to next row
	;; [unrolled: 24-line block ×3, first 2 shown]
v_cmp_lt_u32 s[54:55], v48, s[sgprSizeI]           // coord0 < size0
v_cmp_lt_u32 s[58:59], v49, s[sgprSizeJ]           // coord1 < size1
s_and_b64 s[58:59], s[54:55], s[58:59]             // in0 && in1
_v_add_lshl_u32 v175, v50, v48, 0x1                // scaleToBpe: accumulate d0 lower and *= bpe into Cin addr
v_cndmask_b32 v175, -1, v175, s[58:59]             // LDC clip if OOB. offset
_buffer_load_d16_b16 v176, v175, s[sgprSrdC:sgprSrdC+3], 0, offen offset:0,  sc1 // load C for beta calc
_v_add_lshl_u32 v175, v51, v48, 0x1                // scaleToBpe: accumulate d0 lower and *= bpe into Cin addr
v_cndmask_b32 v175, -1, v175, s[58:59]             // LDD clip if OOB. offset
/* (d1,vc1,d0,vc0)=(4,3,0,1) */
_v_add_co_u32 v52, vcc, v48, 1                     // coord0.1: coord0 += d0*sg0*VW + vc0
v_cmp_lt_u32 s[54:55], v52, s[sgprSizeI]           // coord0 < size0
v_cmp_lt_u32 s[58:59], v49, s[sgprSizeJ]           // coord1 < size1
s_and_b64 s[58:59], s[54:55], s[58:59]             // in0 && in1
_v_add_lshl_u32 v178, v50, v52, 0x1                // scaleToBpe: accumulate d0 lower and *= bpe into Cin addr
v_cndmask_b32 v178, -1, v178, s[58:59]             // LDC clip if OOB. offset
_buffer_load_d16_b16 v179, v178, s[sgprSrdC:sgprSrdC+3], 0, offen offset:0,  sc1 // load C for beta calc
_v_add_lshl_u32 v178, v51, v52, 0x1                // scaleToBpe: accumulate d0 lower and *= bpe into Cin addr
v_cndmask_b32 v178, -1, v178, s[58:59]             // LDD clip if OOB. offset
/* (d1,vc1,d0,vc0)=(5,0,0,0) */
_v_add_co_u32 v49, vcc, v49, 29                    // coord1.1: coord1Vgpr += d1*sg1*VW + vc1

/* Fix for UseInitialStridesCD, emitAddressSetupCode */
s_mul_i32 s54, s[sgprStrideC1J], 29                // scale stride
_v_add_u32 v50, v50, s54                           // ROWINC- Move cinRowPtr to next row
s_mul_i32 s54, s[sgprStrideD1J], 29                // scale stride
_v_add_u32 v51, v51, s54                           // Move coutRowPtr to next row
v_cmp_lt_u32 s[54:55], v48, s[sgprSizeI]           // coord0 < size0
v_cmp_lt_u32 s[58:59], v49, s[sgprSizeJ]           // coord1 < size1
s_and_b64 s[58:59], s[54:55], s[58:59]             // in0 && in1
_v_add_lshl_u32 v181, v50, v48, 0x1                // scaleToBpe: accumulate d0 lower and *= bpe into Cin addr
v_cndmask_b32 v181, -1, v181, s[58:59]             // LDC clip if OOB. offset
_buffer_load_d16_b16 v182, v181, s[sgprSrdC:sgprSrdC+3], 0, offen offset:0,  sc1 // load C for beta calc
_v_add_lshl_u32 v181, v51, v48, 0x1                // scaleToBpe: accumulate d0 lower and *= bpe into Cin addr
v_cndmask_b32 v181, -1, v181, s[58:59]             // LDD clip if OOB. offset
/* (d1,vc1,d0,vc0)=(5,0,0,1) */
_v_add_co_u32 v52, vcc, v48, 1                     // coord0.1: coord0 += d0*sg0*VW + vc0
v_cmp_lt_u32 s[54:55], v52, s[sgprSizeI]           // coord0 < size0
v_cmp_lt_u32 s[58:59], v49, s[sgprSizeJ]           // coord1 < size1
s_and_b64 s[58:59], s[54:55], s[58:59]             // in0 && in1
_v_add_lshl_u32 v184, v50, v52, 0x1                // scaleToBpe: accumulate d0 lower and *= bpe into Cin addr
v_cndmask_b32 v184, -1, v184, s[58:59]             // LDC clip if OOB. offset
_buffer_load_d16_b16 v185, v184, s[sgprSrdC:sgprSrdC+3], 0, offen offset:0,  sc1 // load C for beta calc
_v_add_lshl_u32 v184, v51, v52, 0x1                // scaleToBpe: accumulate d0 lower and *= bpe into Cin addr
v_cndmask_b32 v184, -1, v184, s[58:59]             // LDD clip if OOB. offset
/* (d1,vc1,d0,vc0)=(5,1,0,0) */
_v_add_co_u32 v49, vcc, v49, 1                     // coord1.1: coord1Vgpr += d1*sg1*VW + vc1

/* Fix for UseInitialStridesCD, emitAddressSetupCode */
_v_add_u32 v50, v50, s[sgprStrideC1J]              // ROWINC- Move cinRowPtr to next row
_v_add_u32 v51, v51, s[sgprStrideD1J]              // Move coutRowPtr to next row
v_cmp_lt_u32 s[54:55], v48, s[sgprSizeI]           // coord0 < size0
v_cmp_lt_u32 s[58:59], v49, s[sgprSizeJ]           // coord1 < size1
s_and_b64 s[58:59], s[54:55], s[58:59]             // in0 && in1
_v_add_lshl_u32 v187, v50, v48, 0x1                // scaleToBpe: accumulate d0 lower and *= bpe into Cin addr
v_cndmask_b32 v187, -1, v187, s[58:59]             // LDC clip if OOB. offset
_buffer_load_d16_b16 v188, v187, s[sgprSrdC:sgprSrdC+3], 0, offen offset:0,  sc1 // load C for beta calc
_v_add_lshl_u32 v187, v51, v48, 0x1                // scaleToBpe: accumulate d0 lower and *= bpe into Cin addr
v_cndmask_b32 v187, -1, v187, s[58:59]             // LDD clip if OOB. offset
/* (d1,vc1,d0,vc0)=(5,1,0,1) */
_v_add_co_u32 v52, vcc, v48, 1                     // coord0.1: coord0 += d0*sg0*VW + vc0
v_cmp_lt_u32 s[54:55], v52, s[sgprSizeI]           // coord0 < size0
v_cmp_lt_u32 s[58:59], v49, s[sgprSizeJ]           // coord1 < size1
s_and_b64 s[58:59], s[54:55], s[58:59]             // in0 && in1
_v_add_lshl_u32 v190, v50, v52, 0x1                // scaleToBpe: accumulate d0 lower and *= bpe into Cin addr
v_cndmask_b32 v190, -1, v190, s[58:59]             // LDC clip if OOB. offset
_buffer_load_d16_b16 v191, v190, s[sgprSrdC:sgprSrdC+3], 0, offen offset:0,  sc1 // load C for beta calc
_v_add_lshl_u32 v190, v51, v52, 0x1                // scaleToBpe: accumulate d0 lower and *= bpe into Cin addr
v_cndmask_b32 v190, -1, v190, s[58:59]             // LDD clip if OOB. offset
/* (d1,vc1,d0,vc0)=(5,2,0,0) */
_v_add_co_u32 v49, vcc, v49, 1                     // coord1.1: coord1Vgpr += d1*sg1*VW + vc1

/* Fix for UseInitialStridesCD, emitAddressSetupCode */
_v_add_u32 v50, v50, s[sgprStrideC1J]              // ROWINC- Move cinRowPtr to next row
_v_add_u32 v51, v51, s[sgprStrideD1J]              // Move coutRowPtr to next row
	;; [unrolled: 24-line block ×3, first 2 shown]
v_cmp_lt_u32 s[54:55], v48, s[sgprSizeI]           // coord0 < size0
v_cmp_lt_u32 s[58:59], v49, s[sgprSizeJ]           // coord1 < size1
s_and_b64 s[58:59], s[54:55], s[58:59]             // in0 && in1
_v_add_lshl_u32 v199, v50, v48, 0x1                // scaleToBpe: accumulate d0 lower and *= bpe into Cin addr
v_cndmask_b32 v199, -1, v199, s[58:59]             // LDC clip if OOB. offset
_buffer_load_d16_b16 v200, v199, s[sgprSrdC:sgprSrdC+3], 0, offen offset:0,  sc1 // load C for beta calc
_v_add_lshl_u32 v199, v51, v48, 0x1                // scaleToBpe: accumulate d0 lower and *= bpe into Cin addr
v_cndmask_b32 v199, -1, v199, s[58:59]             // LDD clip if OOB. offset
/* (d1,vc1,d0,vc0)=(5,3,0,1) */
_v_add_co_u32 v52, vcc, v48, 1                     // coord0.1: coord0 += d0*sg0*VW + vc0
v_cmp_lt_u32 s[54:55], v52, s[sgprSizeI]           // coord0 < size0
v_cmp_lt_u32 s[58:59], v49, s[sgprSizeJ]           // coord1 < size1
s_and_b64 s[58:59], s[54:55], s[58:59]             // in0 && in1
_v_add_lshl_u32 v202, v50, v52, 0x1                // scaleToBpe: accumulate d0 lower and *= bpe into Cin addr
v_cndmask_b32 v202, -1, v202, s[58:59]             // LDC clip if OOB. offset
_buffer_load_d16_b16 v203, v202, s[sgprSrdC:sgprSrdC+3], 0, offen offset:0,  sc1 // load C for beta calc
_v_add_lshl_u32 v202, v51, v52, 0x1                // scaleToBpe: accumulate d0 lower and *= bpe into Cin addr
v_cndmask_b32 v202, -1, v202, s[58:59]             // LDD clip if OOB. offset
s_waitcnt vmcnt(0)                                 // wait C

/* apply mask, calc new C and issue writes */
v_mov_b32 v55, 0xffff0000                          // mask for pack two bfloat16 element to 32bit
v_mov_b32 v56, 0x7fff0000                          // fp32 Nan
v_mov_b32 v57, 0x7fff                              // rounding bias for bfloat16
v_lshlrev_b32 v52, 16, v59                         // convert bf16 to fp32
_v_mac_f32 v[vgprValuC+60], v52, s[sgprBeta]       // finalSum = sum*alpha + C*beta
v_cmp_u_f32 s[54:55], v[vgprValuC+60], v[vgprValuC+60] // check Nan
v_bfe_u32 v54, v[vgprValuC+60], 16, 1              // Non-Nan case: store lsb of bf16
v_add3_u32 v54, v[vgprValuC+60], v54, v57          // Non-Nan case: add lsb and the increment for rounding
v_cndmask_b32 v[vgprValuC+60], v54, v56, s[54:55]  // 
v_lshrrev_b32 v[vgprValuC+60], 16, v[vgprValuC+60] // convert C to bf16
_buffer_store_b16 v60, v58, s[sgprSrdD:sgprSrdD+3], 0, offen, offset:0,  sc1 // store D
v_lshlrev_b32 v52, 16, v62                         // convert bf16 to fp32
_v_mac_f32 v[vgprValuC+63], v52, s[sgprBeta]       // finalSum = sum*alpha + C*beta
v_cmp_u_f32 s[54:55], v[vgprValuC+63], v[vgprValuC+63] // check Nan
v_bfe_u32 v54, v[vgprValuC+63], 16, 1              // Non-Nan case: store lsb of bf16
v_add3_u32 v54, v[vgprValuC+63], v54, v57          // Non-Nan case: add lsb and the increment for rounding
v_cndmask_b32 v[vgprValuC+63], v54, v56, s[54:55]  // 
v_lshrrev_b32 v[vgprValuC+63], 16, v[vgprValuC+63] // convert C to bf16
_buffer_store_b16 v63, v61, s[sgprSrdD:sgprSrdD+3], 0, offen, offset:0,  sc1 // store D
	;; [unrolled: 8-line block ×14, first 2 shown]
v_lshlrev_b32 v52, 16, v101                        // convert bf16 to fp32
_v_mac_f32 v[vgprValuC+102], v52, s[sgprBeta]      // finalSum = sum*alpha + C*beta
v_cmp_u_f32 s[54:55], v[vgprValuC+102], v[vgprValuC+102] // check Nan
v_bfe_u32 v54, v[vgprValuC+102], 16, 1             // Non-Nan case: store lsb of bf16
v_add3_u32 v54, v[vgprValuC+102], v54, v57         // Non-Nan case: add lsb and the increment for rounding
v_cndmask_b32 v[vgprValuC+102], v54, v56, s[54:55] // 
v_lshrrev_b32 v[vgprValuC+102], 16, v[vgprValuC+102] // convert C to bf16
_buffer_store_b16 v102, v100, s[sgprSrdD:sgprSrdD+3], 0, offen, offset:0,  sc1 // store D
v_lshlrev_b32 v52, 16, v104                        // convert bf16 to fp32
_v_mac_f32 v[vgprValuC+105], v52, s[sgprBeta]      // finalSum = sum*alpha + C*beta
v_cmp_u_f32 s[54:55], v[vgprValuC+105], v[vgprValuC+105] // check Nan
v_bfe_u32 v54, v[vgprValuC+105], 16, 1             // Non-Nan case: store lsb of bf16
v_add3_u32 v54, v[vgprValuC+105], v54, v57         // Non-Nan case: add lsb and the increment for rounding
v_cndmask_b32 v[vgprValuC+105], v54, v56, s[54:55] // 
v_lshrrev_b32 v[vgprValuC+105], 16, v[vgprValuC+105] // convert C to bf16
_buffer_store_b16 v105, v103, s[sgprSrdD:sgprSrdD+3], 0, offen, offset:0,  sc1 // store D
	;; [unrolled: 8-line block ×34, first 2 shown]
s_nop 0                                            // 1 wait state required when next inst writes vgprs held by previous dwordx4 store inst
s_branch label_GW_End_68                           // jump to end
label_GW_End_68:

label_0073:  /// KernelEnd
s_endpgm                                           // Kernel End

